;; amdgpu-corpus repo=ROCm/rocFFT kind=compiled arch=gfx906 opt=O3
	.text
	.amdgcn_target "amdgcn-amd-amdhsa--gfx906"
	.amdhsa_code_object_version 6
	.protected	fft_rtc_back_len924_factors_2_2_3_7_11_wgs_44_tpt_44_halfLds_dp_ip_CI_unitstride_sbrr_dirReg ; -- Begin function fft_rtc_back_len924_factors_2_2_3_7_11_wgs_44_tpt_44_halfLds_dp_ip_CI_unitstride_sbrr_dirReg
	.globl	fft_rtc_back_len924_factors_2_2_3_7_11_wgs_44_tpt_44_halfLds_dp_ip_CI_unitstride_sbrr_dirReg
	.p2align	8
	.type	fft_rtc_back_len924_factors_2_2_3_7_11_wgs_44_tpt_44_halfLds_dp_ip_CI_unitstride_sbrr_dirReg,@function
fft_rtc_back_len924_factors_2_2_3_7_11_wgs_44_tpt_44_halfLds_dp_ip_CI_unitstride_sbrr_dirReg: ; @fft_rtc_back_len924_factors_2_2_3_7_11_wgs_44_tpt_44_halfLds_dp_ip_CI_unitstride_sbrr_dirReg
; %bb.0:
	s_load_dwordx2 s[12:13], s[4:5], 0x50
	s_load_dwordx4 s[8:11], s[4:5], 0x0
	s_load_dwordx2 s[2:3], s[4:5], 0x18
	v_mul_u32_u24_e32 v1, 0x5d2, v0
	v_add_u32_sdwa v5, s6, v1 dst_sel:DWORD dst_unused:UNUSED_PAD src0_sel:DWORD src1_sel:WORD_1
	v_mov_b32_e32 v3, 0
	s_waitcnt lgkmcnt(0)
	v_cmp_lt_u64_e64 s[0:1], s[10:11], 2
	v_mov_b32_e32 v1, 0
	v_mov_b32_e32 v6, v3
	s_and_b64 vcc, exec, s[0:1]
	v_mov_b32_e32 v2, 0
	s_cbranch_vccnz .LBB0_8
; %bb.1:
	s_load_dwordx2 s[0:1], s[4:5], 0x10
	s_add_u32 s6, s2, 8
	s_addc_u32 s7, s3, 0
	v_mov_b32_e32 v1, 0
	v_mov_b32_e32 v2, 0
	s_waitcnt lgkmcnt(0)
	s_add_u32 s14, s0, 8
	s_addc_u32 s15, s1, 0
	s_mov_b64 s[16:17], 1
.LBB0_2:                                ; =>This Inner Loop Header: Depth=1
	s_load_dwordx2 s[18:19], s[14:15], 0x0
                                        ; implicit-def: $vgpr7_vgpr8
	s_waitcnt lgkmcnt(0)
	v_or_b32_e32 v4, s19, v6
	v_cmp_ne_u64_e32 vcc, 0, v[3:4]
	s_and_saveexec_b64 s[0:1], vcc
	s_xor_b64 s[20:21], exec, s[0:1]
	s_cbranch_execz .LBB0_4
; %bb.3:                                ;   in Loop: Header=BB0_2 Depth=1
	v_cvt_f32_u32_e32 v4, s18
	v_cvt_f32_u32_e32 v7, s19
	s_sub_u32 s0, 0, s18
	s_subb_u32 s1, 0, s19
	v_mac_f32_e32 v4, 0x4f800000, v7
	v_rcp_f32_e32 v4, v4
	v_mul_f32_e32 v4, 0x5f7ffffc, v4
	v_mul_f32_e32 v7, 0x2f800000, v4
	v_trunc_f32_e32 v7, v7
	v_mac_f32_e32 v4, 0xcf800000, v7
	v_cvt_u32_f32_e32 v7, v7
	v_cvt_u32_f32_e32 v4, v4
	v_mul_lo_u32 v8, s0, v7
	v_mul_hi_u32 v9, s0, v4
	v_mul_lo_u32 v11, s1, v4
	v_mul_lo_u32 v10, s0, v4
	v_add_u32_e32 v8, v9, v8
	v_add_u32_e32 v8, v8, v11
	v_mul_hi_u32 v9, v4, v10
	v_mul_lo_u32 v11, v4, v8
	v_mul_hi_u32 v13, v4, v8
	v_mul_hi_u32 v12, v7, v10
	v_mul_lo_u32 v10, v7, v10
	v_mul_hi_u32 v14, v7, v8
	v_add_co_u32_e32 v9, vcc, v9, v11
	v_addc_co_u32_e32 v11, vcc, 0, v13, vcc
	v_mul_lo_u32 v8, v7, v8
	v_add_co_u32_e32 v9, vcc, v9, v10
	v_addc_co_u32_e32 v9, vcc, v11, v12, vcc
	v_addc_co_u32_e32 v10, vcc, 0, v14, vcc
	v_add_co_u32_e32 v8, vcc, v9, v8
	v_addc_co_u32_e32 v9, vcc, 0, v10, vcc
	v_add_co_u32_e32 v4, vcc, v4, v8
	v_addc_co_u32_e32 v7, vcc, v7, v9, vcc
	v_mul_lo_u32 v8, s0, v7
	v_mul_hi_u32 v9, s0, v4
	v_mul_lo_u32 v10, s1, v4
	v_mul_lo_u32 v11, s0, v4
	v_add_u32_e32 v8, v9, v8
	v_add_u32_e32 v8, v8, v10
	v_mul_lo_u32 v12, v4, v8
	v_mul_hi_u32 v13, v4, v11
	v_mul_hi_u32 v14, v4, v8
	;; [unrolled: 1-line block ×3, first 2 shown]
	v_mul_lo_u32 v11, v7, v11
	v_mul_hi_u32 v9, v7, v8
	v_add_co_u32_e32 v12, vcc, v13, v12
	v_addc_co_u32_e32 v13, vcc, 0, v14, vcc
	v_mul_lo_u32 v8, v7, v8
	v_add_co_u32_e32 v11, vcc, v12, v11
	v_addc_co_u32_e32 v10, vcc, v13, v10, vcc
	v_addc_co_u32_e32 v9, vcc, 0, v9, vcc
	v_add_co_u32_e32 v8, vcc, v10, v8
	v_addc_co_u32_e32 v9, vcc, 0, v9, vcc
	v_add_co_u32_e32 v4, vcc, v4, v8
	v_addc_co_u32_e32 v9, vcc, v7, v9, vcc
	v_mad_u64_u32 v[7:8], s[0:1], v5, v9, 0
	v_mul_hi_u32 v10, v5, v4
	v_add_co_u32_e32 v11, vcc, v10, v7
	v_addc_co_u32_e32 v12, vcc, 0, v8, vcc
	v_mad_u64_u32 v[7:8], s[0:1], v6, v4, 0
	v_mad_u64_u32 v[9:10], s[0:1], v6, v9, 0
	v_add_co_u32_e32 v4, vcc, v11, v7
	v_addc_co_u32_e32 v4, vcc, v12, v8, vcc
	v_addc_co_u32_e32 v7, vcc, 0, v10, vcc
	v_add_co_u32_e32 v4, vcc, v4, v9
	v_addc_co_u32_e32 v9, vcc, 0, v7, vcc
	v_mul_lo_u32 v10, s19, v4
	v_mul_lo_u32 v11, s18, v9
	v_mad_u64_u32 v[7:8], s[0:1], s18, v4, 0
	v_add3_u32 v8, v8, v11, v10
	v_sub_u32_e32 v10, v6, v8
	v_mov_b32_e32 v11, s19
	v_sub_co_u32_e32 v7, vcc, v5, v7
	v_subb_co_u32_e64 v10, s[0:1], v10, v11, vcc
	v_subrev_co_u32_e64 v11, s[0:1], s18, v7
	v_subbrev_co_u32_e64 v10, s[0:1], 0, v10, s[0:1]
	v_cmp_le_u32_e64 s[0:1], s19, v10
	v_cndmask_b32_e64 v12, 0, -1, s[0:1]
	v_cmp_le_u32_e64 s[0:1], s18, v11
	v_cndmask_b32_e64 v11, 0, -1, s[0:1]
	v_cmp_eq_u32_e64 s[0:1], s19, v10
	v_cndmask_b32_e64 v10, v12, v11, s[0:1]
	v_add_co_u32_e64 v11, s[0:1], 2, v4
	v_addc_co_u32_e64 v12, s[0:1], 0, v9, s[0:1]
	v_add_co_u32_e64 v13, s[0:1], 1, v4
	v_addc_co_u32_e64 v14, s[0:1], 0, v9, s[0:1]
	v_subb_co_u32_e32 v8, vcc, v6, v8, vcc
	v_cmp_ne_u32_e64 s[0:1], 0, v10
	v_cmp_le_u32_e32 vcc, s19, v8
	v_cndmask_b32_e64 v10, v14, v12, s[0:1]
	v_cndmask_b32_e64 v12, 0, -1, vcc
	v_cmp_le_u32_e32 vcc, s18, v7
	v_cndmask_b32_e64 v7, 0, -1, vcc
	v_cmp_eq_u32_e32 vcc, s19, v8
	v_cndmask_b32_e32 v7, v12, v7, vcc
	v_cmp_ne_u32_e32 vcc, 0, v7
	v_cndmask_b32_e64 v7, v13, v11, s[0:1]
	v_cndmask_b32_e32 v8, v9, v10, vcc
	v_cndmask_b32_e32 v7, v4, v7, vcc
.LBB0_4:                                ;   in Loop: Header=BB0_2 Depth=1
	s_andn2_saveexec_b64 s[0:1], s[20:21]
	s_cbranch_execz .LBB0_6
; %bb.5:                                ;   in Loop: Header=BB0_2 Depth=1
	v_cvt_f32_u32_e32 v4, s18
	s_sub_i32 s20, 0, s18
	v_rcp_iflag_f32_e32 v4, v4
	v_mul_f32_e32 v4, 0x4f7ffffe, v4
	v_cvt_u32_f32_e32 v4, v4
	v_mul_lo_u32 v7, s20, v4
	v_mul_hi_u32 v7, v4, v7
	v_add_u32_e32 v4, v4, v7
	v_mul_hi_u32 v4, v5, v4
	v_mul_lo_u32 v7, v4, s18
	v_add_u32_e32 v8, 1, v4
	v_sub_u32_e32 v7, v5, v7
	v_subrev_u32_e32 v9, s18, v7
	v_cmp_le_u32_e32 vcc, s18, v7
	v_cndmask_b32_e32 v7, v7, v9, vcc
	v_cndmask_b32_e32 v4, v4, v8, vcc
	v_add_u32_e32 v8, 1, v4
	v_cmp_le_u32_e32 vcc, s18, v7
	v_cndmask_b32_e32 v7, v4, v8, vcc
	v_mov_b32_e32 v8, v3
.LBB0_6:                                ;   in Loop: Header=BB0_2 Depth=1
	s_or_b64 exec, exec, s[0:1]
	v_mul_lo_u32 v4, v8, s18
	v_mul_lo_u32 v11, v7, s19
	v_mad_u64_u32 v[9:10], s[0:1], v7, s18, 0
	s_load_dwordx2 s[0:1], s[6:7], 0x0
	s_add_u32 s16, s16, 1
	v_add3_u32 v4, v10, v11, v4
	v_sub_co_u32_e32 v5, vcc, v5, v9
	v_subb_co_u32_e32 v4, vcc, v6, v4, vcc
	s_waitcnt lgkmcnt(0)
	v_mul_lo_u32 v4, s0, v4
	v_mul_lo_u32 v6, s1, v5
	v_mad_u64_u32 v[1:2], s[0:1], s0, v5, v[1:2]
	s_addc_u32 s17, s17, 0
	s_add_u32 s6, s6, 8
	v_add3_u32 v2, v6, v2, v4
	v_mov_b32_e32 v4, s10
	v_mov_b32_e32 v5, s11
	s_addc_u32 s7, s7, 0
	v_cmp_ge_u64_e32 vcc, s[16:17], v[4:5]
	s_add_u32 s14, s14, 8
	s_addc_u32 s15, s15, 0
	s_cbranch_vccnz .LBB0_9
; %bb.7:                                ;   in Loop: Header=BB0_2 Depth=1
	v_mov_b32_e32 v5, v7
	v_mov_b32_e32 v6, v8
	s_branch .LBB0_2
.LBB0_8:
	v_mov_b32_e32 v8, v6
	v_mov_b32_e32 v7, v5
.LBB0_9:
	s_lshl_b64 s[0:1], s[10:11], 3
	s_add_u32 s0, s2, s0
	s_addc_u32 s1, s3, s1
	s_load_dwordx2 s[2:3], s[0:1], 0x0
	s_load_dwordx2 s[6:7], s[4:5], 0x20
                                        ; implicit-def: $vgpr66_vgpr67
                                        ; implicit-def: $vgpr46_vgpr47
                                        ; implicit-def: $vgpr34_vgpr35
                                        ; implicit-def: $vgpr14_vgpr15
                                        ; implicit-def: $vgpr38_vgpr39
                                        ; implicit-def: $vgpr10_vgpr11
                                        ; implicit-def: $vgpr50_vgpr51
                                        ; implicit-def: $vgpr62_vgpr63
                                        ; implicit-def: $vgpr70_vgpr71
                                        ; implicit-def: $vgpr42_vgpr43
                                        ; implicit-def: $vgpr74_vgpr75
                                        ; implicit-def: $vgpr54_vgpr55
                                        ; implicit-def: $vgpr30_vgpr31
                                        ; implicit-def: $vgpr58_vgpr59
                                        ; implicit-def: $vgpr26_vgpr27
                                        ; implicit-def: $vgpr78_vgpr79
                                        ; implicit-def: $vgpr22_vgpr23
                                        ; implicit-def: $vgpr82_vgpr83
                                        ; implicit-def: $vgpr18_vgpr19
                                        ; implicit-def: $vgpr88_vgpr89
	s_waitcnt lgkmcnt(0)
	v_mad_u64_u32 v[1:2], s[0:1], s2, v7, v[1:2]
	v_mul_lo_u32 v3, s2, v8
	v_mul_lo_u32 v4, s3, v7
	s_mov_b32 s0, 0x5d1745e
	v_mul_hi_u32 v5, v0, s0
	v_cmp_gt_u64_e64 s[0:1], s[6:7], v[7:8]
	v_add3_u32 v2, v4, v2, v3
	v_lshlrev_b64 v[132:133], 4, v[1:2]
	v_mul_u32_u24_e32 v3, 44, v5
	v_sub_u32_e32 v130, v0, v3
                                        ; implicit-def: $vgpr6_vgpr7
                                        ; implicit-def: $vgpr2_vgpr3
	s_and_saveexec_b64 s[2:3], s[0:1]
	s_cbranch_execz .LBB0_13
; %bb.10:
	v_mov_b32_e32 v131, 0
	v_mov_b32_e32 v0, s13
	v_add_co_u32_e32 v2, vcc, s12, v132
	v_addc_co_u32_e32 v3, vcc, v0, v133, vcc
	v_lshlrev_b64 v[0:1], 4, v[130:131]
	s_movk_i32 s4, 0x2000
	v_add_co_u32_e32 v46, vcc, v2, v0
	v_addc_co_u32_e32 v47, vcc, v3, v1, vcc
	v_add_co_u32_e32 v44, vcc, 0x1000, v46
	v_addc_co_u32_e32 v45, vcc, 0, v47, vcc
	;; [unrolled: 2-line block ×3, first 2 shown]
	s_movk_i32 s4, 0x3000
	v_add_co_u32_e32 v66, vcc, s4, v46
	global_load_dwordx4 v[16:19], v[44:45], off offset:3296
	global_load_dwordx4 v[20:23], v[44:45], off offset:4000
	;; [unrolled: 1-line block ×6, first 2 shown]
	v_addc_co_u32_e32 v67, vcc, 0, v47, vcc
	global_load_dwordx4 v[8:11], v[44:45], off offset:1536
	global_load_dwordx4 v[12:15], v[44:45], off offset:2240
	;; [unrolled: 1-line block ×8, first 2 shown]
	global_load_dwordx4 v[86:89], v[46:47], off
	global_load_dwordx4 v[80:83], v[46:47], off offset:704
	global_load_dwordx4 v[76:79], v[46:47], off offset:1408
	;; [unrolled: 1-line block ×5, first 2 shown]
	v_cmp_gt_u32_e32 vcc, 22, v130
                                        ; implicit-def: $vgpr44_vgpr45
                                        ; implicit-def: $vgpr64_vgpr65
	s_and_saveexec_b64 s[4:5], vcc
	s_cbranch_execz .LBB0_12
; %bb.11:
	v_add_co_u32_e32 v84, vcc, 0x1000, v46
	v_addc_co_u32_e32 v85, vcc, 0, v47, vcc
	v_add_co_u32_e32 v90, vcc, 0x3000, v46
	v_addc_co_u32_e32 v91, vcc, 0, v47, vcc
	global_load_dwordx4 v[44:47], v[84:85], off offset:2944
	global_load_dwordx4 v[64:67], v[90:91], off offset:2144
.LBB0_12:
	s_or_b64 exec, exec, s[4:5]
.LBB0_13:
	s_or_b64 exec, exec, s[2:3]
	s_waitcnt vmcnt(5)
	v_add_f64 v[92:93], v[86:87], -v[16:17]
	s_waitcnt vmcnt(4)
	v_add_f64 v[96:97], v[80:81], -v[20:21]
	v_add_u32_e32 v134, 44, v130
	v_lshl_add_u32 v16, v130, 4, 0
	v_lshl_add_u32 v17, v134, 4, 0
	s_waitcnt vmcnt(3)
	v_add_f64 v[100:101], v[76:77], -v[24:25]
	s_waitcnt vmcnt(2)
	v_add_f64 v[104:105], v[56:57], -v[28:29]
	;; [unrolled: 2-line block ×3, first 2 shown]
	v_fma_f64 v[90:91], v[86:87], 2.0, -v[92:93]
	v_fma_f64 v[94:95], v[80:81], 2.0, -v[96:97]
	s_waitcnt vmcnt(0)
	v_add_f64 v[112:113], v[40:41], -v[68:69]
	v_add_f64 v[116:117], v[0:1], -v[60:61]
	;; [unrolled: 1-line block ×4, first 2 shown]
	v_fma_f64 v[98:99], v[76:77], 2.0, -v[100:101]
	v_fma_f64 v[102:103], v[56:57], 2.0, -v[104:105]
	ds_write_b128 v16, v[90:93]
	ds_write_b128 v17, v[94:97]
	v_add_f64 v[92:93], v[8:9], -v[36:37]
	v_add_f64 v[96:97], v[12:13], -v[32:33]
	v_fma_f64 v[106:107], v[52:53], 2.0, -v[108:109]
	v_fma_f64 v[110:111], v[40:41], 2.0, -v[112:113]
	;; [unrolled: 1-line block ×5, first 2 shown]
	v_add_u32_e32 v52, 0x58, v130
	v_fma_f64 v[90:91], v[8:9], 2.0, -v[92:93]
	v_fma_f64 v[94:95], v[12:13], 2.0, -v[96:97]
	v_add_u32_e32 v56, 0x84, v130
	v_add_u32_e32 v57, 0xb0, v130
	;; [unrolled: 1-line block ×8, first 2 shown]
	v_lshl_add_u32 v20, v52, 4, 0
	v_lshl_add_u32 v21, v56, 4, 0
	;; [unrolled: 1-line block ×8, first 2 shown]
	v_cmp_gt_u32_e32 vcc, 22, v130
	v_lshl_add_u32 v8, v0, 4, 0
	ds_write_b128 v20, v[98:101]
	ds_write_b128 v21, v[102:105]
	ds_write_b128 v24, v[106:109]
	ds_write_b128 v25, v[110:113]
	ds_write_b128 v9, v[114:117]
	ds_write_b128 v12, v[118:121]
	ds_write_b128 v13, v[90:93]
	ds_write_b128 v28, v[94:97]
	s_and_saveexec_b64 s[2:3], vcc
	s_cbranch_execz .LBB0_15
; %bb.14:
	ds_write_b128 v8, v[84:87]
.LBB0_15:
	s_or_b64 exec, exec, s[2:3]
	v_lshl_add_u32 v131, v130, 3, 0
	v_add_u32_e32 v4, 0x800, v131
	v_add_u32_e32 v5, 0x1000, v131
	s_waitcnt lgkmcnt(0)
	; wave barrier
	s_waitcnt lgkmcnt(0)
	ds_read2_b64 v[110:113], v131 offset1:44
	ds_read2_b64 v[106:109], v4 offset0:206 offset1:250
	ds_read2_b64 v[114:117], v131 offset0:88 offset1:132
	;; [unrolled: 1-line block ×6, first 2 shown]
	v_add_u32_e32 v5, 0x1400, v131
	ds_read2_b64 v[94:97], v5 offset0:86 offset1:130
	ds_read2_b64 v[126:129], v4 offset0:96 offset1:140
	v_add_u32_e32 v4, 0x1800, v131
	ds_read2_b64 v[90:93], v4 offset0:46 offset1:90
	s_and_saveexec_b64 s[2:3], vcc
	s_cbranch_execz .LBB0_17
; %bb.16:
	ds_read_b64 v[84:85], v131 offset:3520
	ds_read_b64 v[86:87], v131 offset:7216
.LBB0_17:
	s_or_b64 exec, exec, s[2:3]
	v_add_f64 v[32:33], v[88:89], -v[18:19]
	v_add_f64 v[64:65], v[2:3], -v[62:63]
	;; [unrolled: 1-line block ×9, first 2 shown]
	v_fma_f64 v[30:31], v[88:89], 2.0, -v[32:33]
	v_add_f64 v[80:81], v[10:11], -v[38:39]
	v_add_f64 v[137:138], v[14:15], -v[34:35]
	v_fma_f64 v[62:63], v[2:3], 2.0, -v[64:65]
	v_fma_f64 v[2:3], v[46:47], 2.0, -v[4:5]
	;; [unrolled: 1-line block ×10, first 2 shown]
	s_waitcnt lgkmcnt(0)
	; wave barrier
	s_waitcnt lgkmcnt(0)
	ds_write_b128 v16, v[30:33]
	ds_write_b128 v17, v[70:73]
	;; [unrolled: 1-line block ×10, first 2 shown]
	s_and_saveexec_b64 s[2:3], vcc
	s_cbranch_execz .LBB0_19
; %bb.18:
	ds_write_b128 v8, v[2:5]
.LBB0_19:
	s_or_b64 exec, exec, s[2:3]
	v_add_u32_e32 v18, 0x800, v131
	v_add_u32_e32 v14, 0x1000, v131
	s_waitcnt lgkmcnt(0)
	; wave barrier
	s_waitcnt lgkmcnt(0)
	ds_read2_b64 v[22:25], v131 offset1:44
	ds_read2_b64 v[42:45], v18 offset0:206 offset1:250
	ds_read2_b64 v[6:9], v131 offset0:88 offset1:132
	;; [unrolled: 1-line block ×6, first 2 shown]
	v_add_u32_e32 v19, 0x1400, v131
	v_add_u32_e32 v34, 0x1800, v131
	ds_read2_b64 v[30:33], v19 offset0:86 offset1:130
	ds_read2_b64 v[18:21], v18 offset0:96 offset1:140
	;; [unrolled: 1-line block ×3, first 2 shown]
	v_lshlrev_b32_e32 v51, 1, v130
	v_lshlrev_b32_e32 v53, 1, v134
	;; [unrolled: 1-line block ×10, first 2 shown]
	s_and_saveexec_b64 s[2:3], vcc
	s_cbranch_execz .LBB0_21
; %bb.20:
	ds_read_b64 v[2:3], v131 offset:3520
	ds_read_b64 v[4:5], v131 offset:7216
.LBB0_21:
	s_or_b64 exec, exec, s[2:3]
	v_and_b32_e32 v50, 1, v130
	v_lshlrev_b32_e32 v46, 4, v50
	global_load_dwordx4 v[46:49], v46, s[8:9]
	s_movk_i32 s3, 0xfc
	s_movk_i32 s5, 0x1fc
	s_movk_i32 s4, 0x3fc
	s_movk_i32 s6, 0x2fc
	v_and_or_b32 v53, v53, s3, v50
	v_and_or_b32 v54, v54, s5, v50
	;; [unrolled: 1-line block ×6, first 2 shown]
	v_lshl_add_u32 v55, v53, 3, 0
	v_lshl_add_u32 v58, v54, 3, 0
	v_and_or_b32 v67, v59, s4, v50
	v_lshl_add_u32 v59, v65, 3, 0
	v_lshl_add_u32 v62, v66, 3, 0
	;; [unrolled: 1-line block ×4, first 2 shown]
	s_movk_i32 s2, 0x7c
	v_and_or_b32 v51, v51, s2, v50
	v_and_or_b32 v64, v64, s6, v50
	;; [unrolled: 1-line block ×3, first 2 shown]
	v_lshl_add_u32 v51, v51, 3, 0
	s_waitcnt lgkmcnt(0)
	; wave barrier
	s_waitcnt lgkmcnt(0)
	v_lshl_add_u32 v63, v67, 3, 0
	v_lshl_add_u32 v64, v64, 3, 0
	;; [unrolled: 1-line block ×3, first 2 shown]
	s_waitcnt vmcnt(0)
	v_mul_f64 v[53:54], v[42:43], v[48:49]
	v_mul_f64 v[68:69], v[44:45], v[48:49]
	;; [unrolled: 1-line block ×10, first 2 shown]
	v_fma_f64 v[53:54], v[106:107], v[46:47], v[53:54]
	v_mul_f64 v[135:136], v[4:5], v[48:49]
	v_fma_f64 v[68:69], v[108:109], v[46:47], v[68:69]
	v_fma_f64 v[70:71], v[102:103], v[46:47], v[70:71]
	;; [unrolled: 1-line block ×9, first 2 shown]
	v_add_f64 v[53:54], v[110:111], -v[53:54]
	v_fma_f64 v[135:136], v[86:87], v[46:47], v[135:136]
	v_add_f64 v[68:69], v[112:113], -v[68:69]
	v_add_f64 v[70:71], v[114:115], -v[70:71]
	;; [unrolled: 1-line block ×9, first 2 shown]
	v_fma_f64 v[110:111], v[110:111], 2.0, -v[53:54]
	v_add_f64 v[80:81], v[84:85], -v[135:136]
	v_fma_f64 v[112:113], v[112:113], 2.0, -v[68:69]
	v_fma_f64 v[114:115], v[114:115], 2.0, -v[70:71]
	;; [unrolled: 1-line block ×9, first 2 shown]
	ds_write2_b64 v51, v[110:111], v[53:54] offset1:2
	ds_write2_b64 v55, v[112:113], v[68:69] offset1:2
	;; [unrolled: 1-line block ×10, first 2 shown]
	v_lshlrev_b32_e32 v68, 1, v0
	s_and_saveexec_b64 s[2:3], vcc
	s_cbranch_execz .LBB0_23
; %bb.22:
	v_fma_f64 v[0:1], v[84:85], 2.0, -v[80:81]
	v_and_or_b32 v53, v68, s4, v50
	v_lshl_add_u32 v53, v53, 3, 0
	ds_write2_b64 v53, v[0:1], v[80:81] offset1:2
.LBB0_23:
	s_or_b64 exec, exec, s[2:3]
	v_mul_f64 v[0:1], v[106:107], v[48:49]
	v_mul_f64 v[53:54], v[108:109], v[48:49]
	;; [unrolled: 1-line block ×8, first 2 shown]
	v_fma_f64 v[0:1], v[42:43], v[46:47], -v[0:1]
	v_fma_f64 v[42:43], v[44:45], v[46:47], -v[53:54]
	v_mul_f64 v[44:45], v[90:91], v[48:49]
	v_mul_f64 v[53:54], v[92:93], v[48:49]
	;; [unrolled: 1-line block ×3, first 2 shown]
	v_fma_f64 v[38:39], v[38:39], v[46:47], -v[69:70]
	v_fma_f64 v[40:41], v[40:41], v[46:47], -v[71:72]
	;; [unrolled: 1-line block ×3, first 2 shown]
	v_add_f64 v[69:70], v[22:23], -v[0:1]
	v_fma_f64 v[0:1], v[28:29], v[46:47], -v[75:76]
	v_fma_f64 v[28:29], v[30:31], v[46:47], -v[77:78]
	;; [unrolled: 1-line block ×6, first 2 shown]
	v_add_f64 v[73:74], v[6:7], -v[38:39]
	v_add_f64 v[75:76], v[8:9], -v[40:41]
	;; [unrolled: 1-line block ×9, first 2 shown]
	v_add_u32_e32 v54, 0x800, v131
	v_add_u32_e32 v53, 0x1000, v131
	v_fma_f64 v[94:95], v[6:7], 2.0, -v[73:74]
	v_fma_f64 v[96:97], v[8:9], 2.0, -v[75:76]
	;; [unrolled: 1-line block ×7, first 2 shown]
	v_add_f64 v[82:83], v[2:3], -v[4:5]
	s_waitcnt lgkmcnt(0)
	; wave barrier
	s_waitcnt lgkmcnt(0)
	ds_read2_b64 v[16:19], v131 offset1:44
	ds_read2_b64 v[4:7], v54 offset0:8 offset1:52
	ds_read2_b64 v[40:43], v53 offset0:104 offset1:148
	;; [unrolled: 1-line block ×7, first 2 shown]
	v_fma_f64 v[45:46], v[22:23], 2.0, -v[69:70]
	v_fma_f64 v[47:48], v[24:25], 2.0, -v[71:72]
	v_add_u32_e32 v44, 0x1800, v131
	v_fma_f64 v[108:109], v[20:21], 2.0, -v[92:93]
	ds_read2_b64 v[24:27], v44 offset0:24 offset1:68
	ds_read2_b64 v[20:23], v53 offset0:16 offset1:60
	ds_read_b64 v[0:1], v131 offset:7040
	s_waitcnt lgkmcnt(0)
	; wave barrier
	s_waitcnt lgkmcnt(0)
	ds_write2_b64 v51, v[45:46], v[69:70] offset1:2
	ds_write2_b64 v55, v[47:48], v[71:72] offset1:2
	ds_write2_b64 v58, v[94:95], v[73:74] offset1:2
	ds_write2_b64 v59, v[96:97], v[75:76] offset1:2
	ds_write2_b64 v62, v[98:99], v[77:78] offset1:2
	ds_write2_b64 v63, v[100:101], v[84:85] offset1:2
	ds_write2_b64 v64, v[102:103], v[86:87] offset1:2
	ds_write2_b64 v65, v[104:105], v[88:89] offset1:2
	ds_write2_b64 v66, v[106:107], v[90:91] offset1:2
	ds_write2_b64 v67, v[108:109], v[92:93] offset1:2
	s_and_saveexec_b64 s[2:3], vcc
	s_cbranch_execz .LBB0_25
; %bb.24:
	v_fma_f64 v[2:3], v[2:3], 2.0, -v[82:83]
	v_and_or_b32 v45, v68, s4, v50
	v_lshl_add_u32 v45, v45, 3, 0
	ds_write2_b64 v45, v[2:3], v[82:83] offset1:2
.LBB0_25:
	s_or_b64 exec, exec, s[2:3]
	v_and_b32_e32 v55, 3, v130
	v_lshlrev_b32_e32 v2, 5, v55
	s_waitcnt lgkmcnt(0)
	; wave barrier
	s_waitcnt lgkmcnt(0)
	global_load_dwordx4 v[45:48], v2, s[8:9] offset:32
	global_load_dwordx4 v[62:65], v2, s[8:9] offset:48
	ds_read2_b64 v[66:69], v131 offset1:44
	ds_read2_b64 v[70:73], v54 offset0:8 offset1:52
	ds_read2_b64 v[74:77], v53 offset0:104 offset1:148
	ds_read2_b64 v[84:87], v54 offset0:96 offset1:140
	ds_read2_b64 v[88:91], v131 offset0:88 offset1:132
	ds_read2_b64 v[92:95], v53 offset0:192 offset1:236
	ds_read2_b64 v[96:99], v54 offset0:184 offset1:228
	ds_read2_b64 v[100:103], v131 offset0:176 offset1:220
	ds_read2_b64 v[104:107], v44 offset0:24 offset1:68
	ds_read2_b64 v[108:111], v53 offset0:16 offset1:60
	ds_read_b64 v[2:3], v131 offset:7040
	s_mov_b32 s2, 0xe8584caa
	s_mov_b32 s3, 0xbfebb67a
	;; [unrolled: 1-line block ×4, first 2 shown]
	s_waitcnt lgkmcnt(0)
	; wave barrier
	s_waitcnt lgkmcnt(0)
	s_mov_b32 s6, 0x37e14327
	s_mov_b32 s14, 0xe976ee23
	;; [unrolled: 1-line block ×18, first 2 shown]
	s_waitcnt vmcnt(1)
	v_mul_f64 v[49:50], v[72:73], v[47:48]
	v_mul_f64 v[58:59], v[6:7], v[47:48]
	s_waitcnt vmcnt(0)
	v_mul_f64 v[78:79], v[74:75], v[64:65]
	v_mul_f64 v[112:113], v[40:41], v[64:65]
	;; [unrolled: 1-line block ×26, first 2 shown]
	v_fma_f64 v[6:7], v[6:7], v[45:46], v[49:50]
	v_fma_f64 v[49:50], v[72:73], v[45:46], -v[58:59]
	v_fma_f64 v[40:41], v[40:41], v[62:63], v[78:79]
	v_fma_f64 v[58:59], v[74:75], v[62:63], -v[112:113]
	;; [unrolled: 2-line block ×14, first 2 shown]
	v_add_f64 v[47:48], v[16:17], v[6:7]
	v_add_f64 v[62:63], v[6:7], v[40:41]
	v_add_f64 v[64:65], v[49:50], -v[58:59]
	v_add_f64 v[104:105], v[66:67], v[49:50]
	v_add_f64 v[49:50], v[49:50], v[58:59]
	v_add_f64 v[6:7], v[6:7], -v[40:41]
	v_add_f64 v[110:111], v[72:73], -v[74:75]
	v_add_f64 v[112:113], v[68:69], v[72:73]
	v_add_f64 v[72:73], v[72:73], v[74:75]
	v_add_f64 v[118:119], v[76:77], -v[78:79]
	v_add_f64 v[120:121], v[88:89], v[76:77]
	v_add_f64 v[76:77], v[76:77], v[78:79]
	;; [unrolled: 1-line block ×3, first 2 shown]
	v_fma_f64 v[16:17], v[62:63], -0.5, v[16:17]
	v_fma_f64 v[47:48], v[49:50], -0.5, v[66:67]
	v_add_f64 v[106:107], v[18:19], v[36:37]
	v_add_f64 v[108:109], v[36:37], v[42:43]
	v_add_f64 v[36:37], v[36:37], -v[42:43]
	v_add_f64 v[114:115], v[12:13], v[38:39]
	v_add_f64 v[116:117], v[38:39], v[32:33]
	v_add_f64 v[38:39], v[38:39], -v[32:33]
	v_add_f64 v[122:123], v[28:29], v[34:35]
	v_add_f64 v[62:63], v[104:105], v[58:59]
	v_fma_f64 v[58:59], v[72:73], -0.5, v[68:69]
	v_fma_f64 v[66:67], v[76:77], -0.5, v[88:89]
	v_fma_f64 v[68:69], v[64:65], s[2:3], v[16:17]
	v_fma_f64 v[16:17], v[64:65], s[4:5], v[16:17]
	;; [unrolled: 1-line block ×4, first 2 shown]
	v_add_f64 v[47:48], v[14:15], v[28:29]
	v_add_f64 v[50:51], v[112:113], v[74:75]
	v_fma_f64 v[74:75], v[36:37], s[4:5], v[58:59]
	v_fma_f64 v[76:77], v[36:37], s[2:3], v[58:59]
	v_add_f64 v[58:59], v[84:85], v[86:87]
	v_fma_f64 v[14:15], v[122:123], -0.5, v[14:15]
	v_add_f64 v[88:89], v[84:85], -v[86:87]
	v_fma_f64 v[104:105], v[38:39], s[4:5], v[66:67]
	v_add_f64 v[84:85], v[90:91], v[84:85]
	v_fma_f64 v[66:67], v[38:39], s[2:3], v[66:67]
	v_add_f64 v[38:39], v[47:48], v[34:35]
	v_add_f64 v[47:48], v[30:31], v[24:25]
	v_fma_f64 v[58:59], v[58:59], -0.5, v[90:91]
	v_add_f64 v[28:29], v[28:29], -v[34:35]
	v_fma_f64 v[34:35], v[88:89], s[2:3], v[14:15]
	v_fma_f64 v[14:15], v[88:89], s[4:5], v[14:15]
	v_add_f64 v[84:85], v[84:85], v[86:87]
	v_add_f64 v[86:87], v[92:93], v[94:95]
	;; [unrolled: 1-line block ×3, first 2 shown]
	v_fma_f64 v[8:9], v[47:48], -0.5, v[8:9]
	v_add_f64 v[47:48], v[92:93], -v[94:95]
	v_add_f64 v[42:43], v[106:107], v[42:43]
	v_fma_f64 v[18:19], v[108:109], -0.5, v[18:19]
	v_fma_f64 v[90:91], v[28:29], s[4:5], v[58:59]
	v_add_f64 v[106:107], v[20:21], v[26:27]
	v_fma_f64 v[108:109], v[28:29], s[2:3], v[58:59]
	v_fma_f64 v[58:59], v[86:87], -0.5, v[100:101]
	v_add_f64 v[30:31], v[30:31], -v[24:25]
	v_add_f64 v[24:25], v[88:89], v[24:25]
	v_fma_f64 v[86:87], v[47:48], s[2:3], v[8:9]
	v_add_f64 v[88:89], v[10:11], v[20:21]
	v_fma_f64 v[8:9], v[47:48], s[4:5], v[8:9]
	v_add_f64 v[47:48], v[22:23], v[0:1]
	v_add_f64 v[28:29], v[100:101], v[92:93]
	v_fma_f64 v[10:11], v[106:107], -0.5, v[10:11]
	v_add_f64 v[92:93], v[96:97], -v[98:99]
	v_fma_f64 v[100:101], v[30:31], s[4:5], v[58:59]
	v_fma_f64 v[106:107], v[30:31], s[2:3], v[58:59]
	v_add_f64 v[30:31], v[88:89], v[26:27]
	v_add_f64 v[88:89], v[45:46], v[2:3]
	v_add_f64 v[20:21], v[20:21], -v[26:27]
	v_add_f64 v[26:27], v[4:5], v[22:23]
	v_fma_f64 v[4:5], v[47:48], -0.5, v[4:5]
	v_add_f64 v[47:48], v[45:46], -v[2:3]
	v_add_f64 v[45:46], v[70:71], v[45:46]
	v_add_f64 v[94:95], v[28:29], v[94:95]
	;; [unrolled: 1-line block ×3, first 2 shown]
	v_fma_f64 v[58:59], v[92:93], s[2:3], v[10:11]
	v_fma_f64 v[10:11], v[92:93], s[4:5], v[10:11]
	v_add_f64 v[92:93], v[102:103], v[96:97]
	v_fma_f64 v[12:13], v[116:117], -0.5, v[12:13]
	v_add_f64 v[32:33], v[114:115], v[32:33]
	v_add_f64 v[96:97], v[45:46], v[2:3]
	v_lshrrev_b32_e32 v2, 2, v130
	v_mul_u32_u24_e32 v2, 12, v2
	v_or_b32_e32 v2, v2, v55
	v_lshl_add_u32 v45, v2, 3, 0
	v_lshrrev_b32_e32 v2, 2, v134
	v_mul_u32_u24_e32 v2, 12, v2
	v_or_b32_e32 v2, v2, v55
	ds_write2_b64 v45, v[40:41], v[68:69] offset1:4
	ds_write_b64 v45, v[16:17] offset:64
	v_lshl_add_u32 v40, v2, 3, 0
	v_lshrrev_b32_e32 v2, 2, v52
	v_mul_u32_u24_e32 v2, 12, v2
	v_or_b32_e32 v2, v2, v55
	v_lshl_add_u32 v41, v2, 3, 0
	v_lshrrev_b32_e32 v2, 2, v56
	v_fma_f64 v[6:7], v[110:111], s[2:3], v[18:19]
	v_fma_f64 v[36:37], v[118:119], s[2:3], v[12:13]
	v_mul_u32_u24_e32 v2, 12, v2
	v_fma_f64 v[18:19], v[110:111], s[4:5], v[18:19]
	v_fma_f64 v[12:13], v[118:119], s[4:5], v[12:13]
	v_or_b32_e32 v2, v2, v55
	v_lshl_add_u32 v68, v2, 3, 0
	v_lshrrev_b32_e32 v2, 2, v57
	v_fma_f64 v[28:29], v[28:29], -0.5, v[102:103]
	v_fma_f64 v[70:71], v[88:89], -0.5, v[70:71]
	v_add_f64 v[22:23], v[22:23], -v[0:1]
	v_mul_u32_u24_e32 v2, 12, v2
	v_add_f64 v[0:1], v[26:27], v[0:1]
	v_fma_f64 v[26:27], v[47:48], s[2:3], v[4:5]
	v_or_b32_e32 v2, v2, v55
	v_fma_f64 v[4:5], v[47:48], s[4:5], v[4:5]
	v_lshl_add_u32 v69, v2, 3, 0
	v_lshrrev_b32_e32 v2, 2, v60
	v_mul_u32_u24_e32 v2, 12, v2
	v_or_b32_e32 v2, v2, v55
	v_add_f64 v[78:79], v[120:121], v[78:79]
	ds_write2_b64 v40, v[42:43], v[6:7] offset1:4
	ds_write_b64 v40, v[18:19] offset:64
	ds_write2_b64 v41, v[32:33], v[36:37] offset1:4
	ds_write_b64 v41, v[12:13] offset:64
	;; [unrolled: 2-line block ×4, first 2 shown]
	v_lshl_add_u32 v24, v2, 3, 0
	v_lshrrev_b32_e32 v2, 2, v61
	v_mul_u32_u24_e32 v2, 12, v2
	v_or_b32_e32 v2, v2, v55
	v_add_f64 v[88:89], v[92:93], v[98:99]
	v_fma_f64 v[92:93], v[20:21], s[4:5], v[28:29]
	v_fma_f64 v[20:21], v[20:21], s[2:3], v[28:29]
	;; [unrolled: 1-line block ×4, first 2 shown]
	v_lshl_add_u32 v25, v2, 3, 0
	s_movk_i32 s2, 0xab
	ds_write2_b64 v24, v[30:31], v[58:59] offset1:4
	ds_write_b64 v24, v[10:11] offset:64
	ds_write2_b64 v25, v[0:1], v[26:27] offset1:4
	ds_write_b64 v25, v[4:5] offset:64
	s_waitcnt lgkmcnt(0)
	; wave barrier
	s_waitcnt lgkmcnt(0)
	ds_read2_b64 v[4:7], v131 offset1:44
	ds_read2_b64 v[0:3], v131 offset0:88 offset1:132
	ds_read2_b64 v[8:11], v54 offset0:8 offset1:52
	;; [unrolled: 1-line block ×9, first 2 shown]
	ds_read_b64 v[42:43], v131 offset:7040
	s_waitcnt lgkmcnt(0)
	; wave barrier
	s_waitcnt lgkmcnt(0)
	ds_write2_b64 v45, v[62:63], v[64:65] offset1:4
	ds_write_b64 v45, v[72:73] offset:64
	ds_write2_b64 v40, v[50:51], v[74:75] offset1:4
	ds_write_b64 v40, v[76:77] offset:64
	;; [unrolled: 2-line block ×7, first 2 shown]
	v_mul_lo_u16_sdwa v20, v130, s2 dst_sel:DWORD dst_unused:UNUSED_PAD src0_sel:BYTE_0 src1_sel:DWORD
	v_lshrrev_b16_e32 v40, 11, v20
	v_mul_lo_u16_e32 v20, 12, v40
	v_sub_u16_e32 v41, v130, v20
	v_mov_b32_e32 v20, 6
	v_mul_u32_u24_sdwa v21, v41, v20 dst_sel:DWORD dst_unused:UNUSED_PAD src0_sel:BYTE_0 src1_sel:DWORD
	v_lshlrev_b32_e32 v21, 4, v21
	s_waitcnt lgkmcnt(0)
	; wave barrier
	s_waitcnt lgkmcnt(0)
	global_load_dwordx4 v[59:62], v21, s[8:9] offset:160
	global_load_dwordx4 v[63:66], v21, s[8:9] offset:176
	;; [unrolled: 1-line block ×6, first 2 shown]
	v_mul_lo_u16_sdwa v21, v134, s2 dst_sel:DWORD dst_unused:UNUSED_PAD src0_sel:BYTE_0 src1_sel:DWORD
	v_lshrrev_b16_e32 v197, 11, v21
	v_mul_lo_u16_e32 v21, 12, v197
	v_sub_u16_e32 v198, v134, v21
	v_mul_u32_u24_sdwa v21, v198, v20 dst_sel:DWORD dst_unused:UNUSED_PAD src0_sel:BYTE_0 src1_sel:DWORD
	v_lshlrev_b32_e32 v21, 4, v21
	global_load_dwordx4 v[88:91], v21, s[8:9] offset:160
	global_load_dwordx4 v[118:121], v21, s[8:9] offset:176
	;; [unrolled: 1-line block ×6, first 2 shown]
	v_mul_lo_u16_sdwa v21, v52, s2 dst_sel:DWORD dst_unused:UNUSED_PAD src0_sel:BYTE_0 src1_sel:DWORD
	v_lshrrev_b16_e32 v199, 11, v21
	v_mul_lo_u16_e32 v21, 12, v199
	v_sub_u16_e32 v52, v52, v21
	v_mul_u32_u24_sdwa v20, v52, v20 dst_sel:DWORD dst_unused:UNUSED_PAD src0_sel:BYTE_0 src1_sel:DWORD
	v_lshlrev_b32_e32 v20, 4, v20
	global_load_dwordx4 v[143:146], v20, s[8:9] offset:160
	global_load_dwordx4 v[147:150], v20, s[8:9] offset:176
	;; [unrolled: 1-line block ×6, first 2 shown]
	ds_read2_b64 v[24:27], v131 offset1:44
	ds_read2_b64 v[20:23], v131 offset0:88 offset1:132
	ds_read2_b64 v[100:103], v54 offset0:8 offset1:52
	;; [unrolled: 1-line block ×9, first 2 shown]
	s_mov_b32 s4, 0x36b3c0b5
	s_mov_b32 s5, 0x3fac98ee
	ds_read_b64 v[195:196], v131 offset:7040
	v_mul_u32_u24_e32 v40, 0x2a0, v40
	s_waitcnt lgkmcnt(0)
	; wave barrier
	s_waitcnt lgkmcnt(0)
	v_cmp_gt_u32_e64 s[2:3], 40, v130
	s_waitcnt vmcnt(17)
	v_mul_f64 v[44:45], v[22:23], v[61:62]
	v_mul_f64 v[50:51], v[2:3], v[61:62]
	s_waitcnt vmcnt(16)
	v_mul_f64 v[61:62], v[100:101], v[65:66]
	v_mul_f64 v[65:66], v[8:9], v[65:66]
	s_waitcnt vmcnt(15)
	v_mul_f64 v[98:99], v[169:170], v[69:70]
	v_fma_f64 v[92:93], v[2:3], v[59:60], v[44:45]
	v_mul_f64 v[2:3], v[14:15], v[69:70]
	v_fma_f64 v[94:95], v[8:9], v[63:64], v[61:62]
	s_waitcnt vmcnt(14)
	v_mul_f64 v[8:9], v[171:172], v[73:74]
	v_fma_f64 v[98:99], v[14:15], v[67:68], v[98:99]
	v_mul_f64 v[14:15], v[16:17], v[73:74]
	s_waitcnt vmcnt(12)
	v_mul_f64 v[44:45], v[38:39], v[86:87]
	v_fma_f64 v[96:97], v[22:23], v[59:60], -v[50:51]
	v_mul_f64 v[50:51], v[179:180], v[77:78]
	v_fma_f64 v[104:105], v[169:170], v[67:68], -v[2:3]
	v_mul_f64 v[2:3], v[28:29], v[77:78]
	v_fma_f64 v[106:107], v[16:17], v[71:72], v[8:9]
	s_waitcnt vmcnt(11)
	v_mul_f64 v[8:9], v[183:184], v[90:91]
	v_fma_f64 v[108:109], v[171:172], v[71:72], -v[14:15]
	v_fma_f64 v[114:115], v[177:178], v[84:85], -v[44:45]
	v_mul_f64 v[14:15], v[32:33], v[90:91]
	s_waitcnt vmcnt(10)
	v_mul_f64 v[16:17], v[102:103], v[120:121]
	v_fma_f64 v[100:101], v[100:101], v[63:64], -v[65:66]
	v_fma_f64 v[116:117], v[179:180], v[75:76], -v[2:3]
	v_mul_f64 v[2:3], v[10:11], v[120:121]
	v_fma_f64 v[44:45], v[32:33], v[88:89], v[8:9]
	s_waitcnt vmcnt(9)
	v_mul_f64 v[8:9], v[187:188], v[124:125]
	v_mul_f64 v[22:23], v[177:178], v[86:87]
	v_fma_f64 v[110:111], v[28:29], v[75:76], v[50:51]
	s_waitcnt vmcnt(8)
	v_mul_f64 v[28:29], v[173:174], v[128:129]
	v_fma_f64 v[88:89], v[183:184], v[88:89], -v[14:15]
	v_fma_f64 v[64:65], v[10:11], v[118:119], v[16:17]
	v_mul_f64 v[10:11], v[18:19], v[128:129]
	s_waitcnt vmcnt(7)
	v_mul_f64 v[14:15], v[191:192], v[137:138]
	v_fma_f64 v[86:87], v[102:103], v[118:119], -v[2:3]
	v_fma_f64 v[68:69], v[46:47], v[122:123], v[8:9]
	v_mul_f64 v[2:3], v[55:56], v[137:138]
	s_waitcnt vmcnt(6)
	v_mul_f64 v[8:9], v[181:182], v[141:142]
	v_fma_f64 v[112:113], v[38:39], v[84:85], v[22:23]
	v_mul_f64 v[22:23], v[46:47], v[124:125]
	v_fma_f64 v[70:71], v[18:19], v[126:127], v[28:29]
	v_fma_f64 v[78:79], v[173:174], v[126:127], -v[10:11]
	v_fma_f64 v[72:73], v[55:56], v[135:136], v[14:15]
	v_mul_f64 v[10:11], v[30:31], v[141:142]
	s_waitcnt vmcnt(5)
	v_mul_f64 v[14:15], v[185:186], v[145:146]
	s_waitcnt vmcnt(4)
	v_mul_f64 v[18:19], v[167:168], v[149:150]
	v_fma_f64 v[90:91], v[191:192], v[135:136], -v[2:3]
	v_fma_f64 v[76:77], v[30:31], v[139:140], v[8:9]
	v_mul_f64 v[2:3], v[12:13], v[149:150]
	s_waitcnt vmcnt(3)
	v_mul_f64 v[8:9], v[189:190], v[153:154]
	v_fma_f64 v[74:75], v[187:188], v[122:123], -v[22:23]
	v_mul_f64 v[16:17], v[34:35], v[145:146]
	v_fma_f64 v[102:103], v[181:182], v[139:140], -v[10:11]
	v_fma_f64 v[22:23], v[34:35], v[143:144], v[14:15]
	v_fma_f64 v[28:29], v[12:13], v[147:148], v[18:19]
	v_mul_f64 v[10:11], v[48:49], v[153:154]
	s_waitcnt vmcnt(2)
	v_mul_f64 v[12:13], v[175:176], v[157:158]
	v_fma_f64 v[34:35], v[167:168], v[147:148], -v[2:3]
	v_fma_f64 v[30:31], v[48:49], v[151:152], v[8:9]
	v_add_f64 v[2:3], v[92:93], v[110:111]
	v_add_f64 v[8:9], v[94:95], v[112:113]
	v_fma_f64 v[32:33], v[185:186], v[143:144], -v[16:17]
	v_mul_f64 v[14:15], v[36:37], v[157:158]
	s_waitcnt vmcnt(1)
	v_mul_f64 v[16:17], v[193:194], v[161:162]
	v_fma_f64 v[38:39], v[189:190], v[151:152], -v[10:11]
	v_fma_f64 v[36:37], v[36:37], v[155:156], v[12:13]
	v_add_f64 v[10:11], v[100:101], -v[114:115]
	v_add_f64 v[12:13], v[98:99], v[106:107]
	v_add_f64 v[18:19], v[108:109], -v[104:105]
	v_add_f64 v[48:49], v[8:9], v[2:3]
	v_fma_f64 v[66:67], v[175:176], v[155:156], -v[14:15]
	v_fma_f64 v[46:47], v[57:58], v[159:160], v[16:17]
	v_mul_f64 v[14:15], v[57:58], v[161:162]
	v_add_f64 v[50:51], v[96:97], -v[116:117]
	v_add_f64 v[59:60], v[8:9], -v[2:3]
	;; [unrolled: 1-line block ×3, first 2 shown]
	v_add_f64 v[57:58], v[18:19], v[10:11]
	v_add_f64 v[48:49], v[12:13], v[48:49]
	v_add_f64 v[8:9], v[12:13], -v[8:9]
	v_add_f64 v[12:13], v[18:19], -v[10:11]
	s_waitcnt vmcnt(0)
	v_mul_f64 v[16:17], v[195:196], v[165:166]
	v_add_f64 v[18:19], v[50:51], -v[18:19]
	v_add_f64 v[10:11], v[10:11], -v[50:51]
	v_mul_f64 v[2:3], v[2:3], s[6:7]
	v_add_f64 v[50:51], v[57:58], v[50:51]
	v_add_f64 v[57:58], v[4:5], v[48:49]
	v_mul_f64 v[4:5], v[8:9], s[4:5]
	v_mul_f64 v[12:13], v[12:13], s[14:15]
	;; [unrolled: 1-line block ×3, first 2 shown]
	v_fma_f64 v[120:121], v[193:194], v[159:160], -v[14:15]
	v_mul_f64 v[61:62], v[10:11], s[10:11]
	v_fma_f64 v[8:9], v[8:9], s[4:5], v[2:3]
	v_fma_f64 v[2:3], v[59:60], s[20:21], -v[2:3]
	v_fma_f64 v[48:49], v[48:49], s[16:17], v[57:58]
	v_fma_f64 v[4:5], v[59:60], s[18:19], -v[4:5]
	;; [unrolled: 2-line block ×4, first 2 shown]
	v_fma_f64 v[122:123], v[195:196], v[163:164], -v[55:56]
	v_add_f64 v[14:15], v[68:69], v[70:71]
	v_add_f64 v[8:9], v[8:9], v[48:49]
	;; [unrolled: 1-line block ×4, first 2 shown]
	v_fma_f64 v[12:13], v[50:51], s[24:25], v[59:60]
	v_add_f64 v[48:49], v[44:45], v[76:77]
	v_add_f64 v[59:60], v[64:65], v[72:73]
	v_fma_f64 v[10:11], v[50:51], s[24:25], v[10:11]
	v_fma_f64 v[18:19], v[50:51], s[24:25], v[18:19]
	v_add_f64 v[61:62], v[86:87], -v[90:91]
	v_add_f64 v[84:85], v[78:79], -v[74:75]
	;; [unrolled: 1-line block ×3, first 2 shown]
	v_add_f64 v[42:43], v[12:13], v[8:9]
	v_add_f64 v[135:136], v[8:9], -v[12:13]
	v_add_f64 v[16:17], v[59:60], v[48:49]
	v_add_f64 v[55:56], v[4:5], -v[10:11]
	;; [unrolled: 2-line block ×4, first 2 shown]
	v_add_f64 v[8:9], v[48:49], -v[14:15]
	v_add_f64 v[10:11], v[14:15], -v[59:60]
	v_add_f64 v[2:3], v[14:15], v[16:17]
	v_add_f64 v[12:13], v[84:85], v[61:62]
	v_add_f64 v[14:15], v[84:85], -v[61:62]
	v_add_f64 v[16:17], v[61:62], -v[4:5]
	v_add_f64 v[18:19], v[59:60], -v[48:49]
	v_add_f64 v[48:49], v[4:5], -v[84:85]
	v_add_f64 v[61:62], v[22:23], v[118:119]
	v_add_f64 v[84:85], v[28:29], v[46:47]
	;; [unrolled: 1-line block ×3, first 2 shown]
	v_mul_f64 v[6:7], v[8:9], s[6:7]
	v_mul_f64 v[8:9], v[10:11], s[4:5]
	v_add_f64 v[4:5], v[12:13], v[4:5]
	v_mul_f64 v[12:13], v[14:15], s[14:15]
	v_mul_f64 v[14:15], v[16:17], s[10:11]
	v_add_f64 v[141:142], v[32:33], -v[122:123]
	v_add_f64 v[137:138], v[84:85], v[61:62]
	v_fma_f64 v[2:3], v[2:3], s[16:17], v[59:60]
	v_fma_f64 v[10:11], v[10:11], s[4:5], v[6:7]
	v_fma_f64 v[8:9], v[18:19], s[18:19], -v[8:9]
	v_fma_f64 v[6:7], v[18:19], s[20:21], -v[6:7]
	v_fma_f64 v[18:19], v[48:49], s[22:23], v[12:13]
	v_fma_f64 v[12:13], v[16:17], s[10:11], -v[12:13]
	v_add_f64 v[16:17], v[30:31], v[36:37]
	v_fma_f64 v[14:15], v[48:49], s[26:27], -v[14:15]
	v_add_f64 v[48:49], v[34:35], -v[120:121]
	v_add_f64 v[10:11], v[10:11], v[2:3]
	v_add_f64 v[8:9], v[8:9], v[2:3]
	;; [unrolled: 1-line block ×3, first 2 shown]
	v_fma_f64 v[18:19], v[4:5], s[24:25], v[18:19]
	v_fma_f64 v[12:13], v[4:5], s[24:25], v[12:13]
	v_add_f64 v[137:138], v[16:17], v[137:138]
	v_add_f64 v[143:144], v[61:62], -v[16:17]
	v_add_f64 v[16:17], v[16:17], -v[84:85]
	;; [unrolled: 1-line block ×5, first 2 shown]
	v_add_f64 v[48:49], v[139:140], v[48:49]
	v_add_f64 v[139:140], v[141:142], -v[139:140]
	v_add_f64 v[6:7], v[0:1], v[137:138]
	v_mul_f64 v[0:1], v[143:144], s[6:7]
	v_mul_f64 v[84:85], v[16:17], s[4:5]
	;; [unrolled: 1-line block ×4, first 2 shown]
	v_fma_f64 v[4:5], v[4:5], s[24:25], v[14:15]
	v_add_f64 v[48:49], v[48:49], v[141:142]
	v_fma_f64 v[137:138], v[137:138], s[16:17], v[6:7]
	v_fma_f64 v[16:17], v[16:17], s[4:5], v[0:1]
	v_fma_f64 v[84:85], v[61:62], s[18:19], -v[84:85]
	v_fma_f64 v[0:1], v[61:62], s[20:21], -v[0:1]
	v_fma_f64 v[61:62], v[139:140], s[22:23], v[143:144]
	v_fma_f64 v[139:140], v[139:140], s[26:27], -v[145:146]
	v_fma_f64 v[141:142], v[147:148], s[10:11], -v[143:144]
	v_add_f64 v[143:144], v[18:19], v[10:11]
	v_add_f64 v[145:146], v[16:17], v[137:138]
	;; [unrolled: 1-line block ×4, first 2 shown]
	v_fma_f64 v[61:62], v[48:49], s[24:25], v[61:62]
	v_fma_f64 v[84:85], v[48:49], s[24:25], v[139:140]
	;; [unrolled: 1-line block ×3, first 2 shown]
	v_add_f64 v[139:140], v[8:9], -v[12:13]
	v_add_f64 v[0:1], v[12:13], v[8:9]
	v_add_f64 v[137:138], v[4:5], v[2:3]
	v_add_f64 v[2:3], v[2:3], -v[4:5]
	v_add_f64 v[4:5], v[10:11], -v[18:19]
	v_add_f64 v[8:9], v[61:62], v[145:146]
	v_add_f64 v[10:11], v[84:85], v[16:17]
	v_add_f64 v[12:13], v[14:15], -v[48:49]
	v_add_f64 v[14:15], v[48:49], v[14:15]
	v_add_f64 v[16:17], v[16:17], -v[84:85]
	v_add_f64 v[18:19], v[145:146], -v[61:62]
	v_mov_b32_e32 v48, 3
	v_lshlrev_b32_sdwa v41, v48, v41 dst_sel:DWORD dst_unused:UNUSED_PAD src0_sel:DWORD src1_sel:BYTE_0
	v_add3_u32 v124, 0, v40, v41
	v_mul_u32_u24_e32 v40, 0x2a0, v197
	v_lshlrev_b32_sdwa v41, v48, v198 dst_sel:DWORD dst_unused:UNUSED_PAD src0_sel:DWORD src1_sel:BYTE_0
	ds_write2_b64 v124, v[57:58], v[42:43] offset1:12
	ds_write2_b64 v124, v[50:51], v[55:56] offset0:24 offset1:36
	ds_write2_b64 v124, v[125:126], v[127:128] offset0:48 offset1:60
	ds_write_b64 v124, v[135:136] offset:576
	v_add3_u32 v125, 0, v40, v41
	v_mul_u32_u24_e32 v40, 0x2a0, v199
	v_lshlrev_b32_sdwa v41, v48, v52 dst_sel:DWORD dst_unused:UNUSED_PAD src0_sel:DWORD src1_sel:BYTE_0
	v_add3_u32 v126, 0, v40, v41
	v_add_u32_e32 v127, 0xc00, v131
	ds_write2_b64 v125, v[59:60], v[143:144] offset1:12
	ds_write2_b64 v125, v[137:138], v[139:140] offset0:24 offset1:36
	ds_write2_b64 v125, v[0:1], v[2:3] offset0:48 offset1:60
	ds_write_b64 v125, v[4:5] offset:576
	ds_write2_b64 v126, v[6:7], v[8:9] offset1:12
	ds_write2_b64 v126, v[10:11], v[12:13] offset0:24 offset1:36
	ds_write2_b64 v126, v[14:15], v[16:17] offset0:48 offset1:60
	ds_write_b64 v126, v[18:19] offset:576
	s_waitcnt lgkmcnt(0)
	; wave barrier
	s_waitcnt lgkmcnt(0)
	ds_read2_b64 v[40:43], v131 offset1:84
	ds_read2_b64 v[48:51], v131 offset0:168 offset1:252
	ds_read2_b64 v[56:59], v54 offset0:80 offset1:164
	;; [unrolled: 1-line block ×4, first 2 shown]
	ds_read_b64 v[84:85], v131 offset:6720
	s_and_saveexec_b64 s[28:29], s[2:3]
	s_cbranch_execz .LBB0_27
; %bb.26:
	v_add_u32_e32 v4, 0x400, v131
	v_add_u32_e32 v8, 0x800, v131
	;; [unrolled: 1-line block ×4, first 2 shown]
	ds_read2_b64 v[0:3], v131 offset0:44 offset1:128
	ds_read2_b64 v[4:7], v4 offset0:84 offset1:168
	;; [unrolled: 1-line block ×5, first 2 shown]
	ds_read_b64 v[80:81], v131 offset:7072
.LBB0_27:
	s_or_b64 exec, exec, s[28:29]
	v_add_f64 v[96:97], v[96:97], v[116:117]
	v_add_f64 v[100:101], v[100:101], v[114:115]
	v_add_f64 v[94:95], v[94:95], -v[112:113]
	v_add_f64 v[104:105], v[104:105], v[108:109]
	v_add_f64 v[98:99], v[106:107], -v[98:99]
	v_add_f64 v[92:93], v[92:93], -v[110:111]
	v_add_f64 v[88:89], v[88:89], v[102:103]
	v_add_f64 v[86:87], v[86:87], v[90:91]
	;; [unrolled: 1-line block ×4, first 2 shown]
	v_add_f64 v[64:65], v[64:65], -v[72:73]
	v_add_f64 v[108:109], v[96:97], -v[104:105]
	;; [unrolled: 1-line block ×4, first 2 shown]
	v_add_f64 v[94:95], v[98:99], v[94:95]
	v_add_f64 v[98:99], v[92:93], -v[98:99]
	v_add_f64 v[78:79], v[86:87], v[88:89]
	v_add_f64 v[106:107], v[104:105], v[106:107]
	v_add_f64 v[104:105], v[104:105], -v[100:101]
	v_mul_f64 v[108:109], v[108:109], s[6:7]
	v_mul_f64 v[110:111], v[110:111], s[14:15]
	;; [unrolled: 1-line block ×3, first 2 shown]
	v_add_f64 v[92:93], v[94:95], v[92:93]
	v_add_f64 v[68:69], v[70:71], -v[68:69]
	v_add_f64 v[44:45], v[44:45], -v[76:77]
	v_add_f64 v[112:113], v[24:25], v[106:107]
	v_add_f64 v[24:25], v[100:101], -v[96:97]
	v_mul_f64 v[96:97], v[104:105], s[4:5]
	v_fma_f64 v[94:95], v[104:105], s[4:5], v[108:109]
	v_fma_f64 v[100:101], v[98:99], s[22:23], v[110:111]
	v_fma_f64 v[102:103], v[102:103], s[10:11], -v[110:111]
	v_fma_f64 v[90:91], v[98:99], s[26:27], -v[90:91]
	v_add_f64 v[70:71], v[88:89], -v[74:75]
	v_fma_f64 v[98:99], v[106:107], s[16:17], v[112:113]
	v_fma_f64 v[104:105], v[24:25], s[20:21], -v[108:109]
	v_fma_f64 v[24:25], v[24:25], s[18:19], -v[96:97]
	v_add_f64 v[72:73], v[74:75], v[78:79]
	v_fma_f64 v[96:97], v[92:93], s[24:25], v[100:101]
	v_fma_f64 v[100:101], v[92:93], s[24:25], v[102:103]
	;; [unrolled: 1-line block ×3, first 2 shown]
	v_add_f64 v[32:33], v[32:33], v[122:123]
	v_add_f64 v[92:93], v[94:95], v[98:99]
	;; [unrolled: 1-line block ×6, first 2 shown]
	v_add_f64 v[28:29], v[28:29], -v[46:47]
	v_add_f64 v[30:31], v[36:37], -v[30:31]
	v_add_f64 v[22:23], v[22:23], -v[118:119]
	v_add_f64 v[76:77], v[92:93], -v[96:97]
	v_add_f64 v[78:79], v[94:95], -v[90:91]
	v_add_f64 v[98:99], v[100:101], v[24:25]
	v_add_f64 v[100:101], v[24:25], -v[100:101]
	v_add_f64 v[90:91], v[90:91], v[94:95]
	v_add_f64 v[24:25], v[74:75], -v[86:87]
	;; [unrolled: 2-line block ×3, first 2 shown]
	v_add_f64 v[64:65], v[64:65], -v[44:45]
	v_add_f64 v[86:87], v[86:87], -v[88:89]
	;; [unrolled: 1-line block ×3, first 2 shown]
	v_add_f64 v[88:89], v[26:27], v[72:73]
	v_mul_f64 v[26:27], v[70:71], s[6:7]
	v_mul_f64 v[70:71], v[24:25], s[4:5]
	v_add_f64 v[44:45], v[74:75], v[44:45]
	v_mul_f64 v[74:75], v[94:95], s[14:15]
	v_add_f64 v[66:67], v[34:35], v[32:33]
	;; [unrolled: 2-line block ×3, first 2 shown]
	v_fma_f64 v[72:73], v[72:73], s[16:17], v[88:89]
	v_fma_f64 v[24:25], v[24:25], s[4:5], v[26:27]
	v_fma_f64 v[70:71], v[86:87], s[18:19], -v[70:71]
	v_fma_f64 v[26:27], v[86:87], s[20:21], -v[26:27]
	v_fma_f64 v[86:87], v[68:69], s[22:23], v[74:75]
	v_fma_f64 v[64:65], v[64:65], s[10:11], -v[74:75]
	v_add_f64 v[66:67], v[38:39], v[66:67]
	v_add_f64 v[74:75], v[30:31], -v[28:29]
	v_fma_f64 v[68:69], v[68:69], s[26:27], -v[94:95]
	v_add_f64 v[24:25], v[24:25], v[72:73]
	v_add_f64 v[36:37], v[70:71], v[72:73]
	;; [unrolled: 1-line block ×3, first 2 shown]
	v_add_f64 v[70:71], v[32:33], -v[38:39]
	v_add_f64 v[38:39], v[38:39], -v[34:35]
	v_fma_f64 v[72:73], v[44:45], s[24:25], v[86:87]
	v_add_f64 v[86:87], v[28:29], -v[22:23]
	v_add_f64 v[32:33], v[34:35], -v[32:33]
	v_add_f64 v[28:29], v[30:31], v[28:29]
	v_add_f64 v[26:27], v[20:21], v[66:67]
	v_add_f64 v[30:31], v[22:23], -v[30:31]
	v_mul_f64 v[20:21], v[70:71], s[6:7]
	v_mul_f64 v[34:35], v[38:39], s[4:5]
	;; [unrolled: 1-line block ×4, first 2 shown]
	v_fma_f64 v[64:65], v[44:45], s[24:25], v[64:65]
	v_add_f64 v[22:23], v[28:29], v[22:23]
	v_fma_f64 v[28:29], v[66:67], s[16:17], v[26:27]
	v_fma_f64 v[44:45], v[44:45], s[24:25], v[68:69]
	;; [unrolled: 1-line block ×3, first 2 shown]
	v_fma_f64 v[34:35], v[32:33], s[18:19], -v[34:35]
	v_fma_f64 v[20:21], v[32:33], s[20:21], -v[20:21]
	v_fma_f64 v[32:33], v[30:31], s[22:23], v[70:71]
	v_fma_f64 v[30:31], v[30:31], s[26:27], -v[74:75]
	v_fma_f64 v[66:67], v[86:87], s[10:11], -v[70:71]
	v_add_f64 v[68:69], v[24:25], -v[72:73]
	v_add_f64 v[94:95], v[46:47], -v[44:45]
	v_add_f64 v[38:39], v[38:39], v[28:29]
	v_add_f64 v[34:35], v[34:35], v[28:29]
	;; [unrolled: 1-line block ×3, first 2 shown]
	v_fma_f64 v[74:75], v[22:23], s[24:25], v[32:33]
	v_fma_f64 v[86:87], v[22:23], s[24:25], v[30:31]
	;; [unrolled: 1-line block ×3, first 2 shown]
	v_add_f64 v[96:97], v[64:65], v[36:37]
	v_add_f64 v[20:21], v[36:37], -v[64:65]
	v_add_f64 v[22:23], v[44:45], v[46:47]
	v_add_f64 v[24:25], v[72:73], v[24:25]
	s_waitcnt lgkmcnt(0)
	v_add_f64 v[28:29], v[38:39], -v[74:75]
	v_add_f64 v[30:31], v[70:71], -v[86:87]
	v_add_f64 v[32:33], v[66:67], v[34:35]
	v_add_f64 v[34:35], v[34:35], -v[66:67]
	v_add_f64 v[36:37], v[86:87], v[70:71]
	v_add_f64 v[38:39], v[74:75], v[38:39]
	; wave barrier
	ds_write2_b64 v124, v[112:113], v[76:77] offset1:12
	ds_write2_b64 v124, v[78:79], v[98:99] offset0:24 offset1:36
	ds_write2_b64 v124, v[100:101], v[90:91] offset0:48 offset1:60
	ds_write_b64 v124, v[92:93] offset:576
	ds_write2_b64 v125, v[88:89], v[68:69] offset1:12
	ds_write2_b64 v125, v[94:95], v[96:97] offset0:24 offset1:36
	ds_write2_b64 v125, v[20:21], v[22:23] offset0:48 offset1:60
	ds_write_b64 v125, v[24:25] offset:576
	ds_write2_b64 v126, v[26:27], v[28:29] offset1:12
	ds_write2_b64 v126, v[30:31], v[32:33] offset0:24 offset1:36
	ds_write2_b64 v126, v[34:35], v[36:37] offset0:48 offset1:60
	ds_write_b64 v126, v[38:39] offset:576
	v_add_u32_e32 v88, 0x800, v131
	v_add_u32_e32 v89, 0x1000, v131
	s_waitcnt lgkmcnt(0)
	; wave barrier
	s_waitcnt lgkmcnt(0)
	ds_read2_b64 v[44:47], v131 offset1:84
	ds_read2_b64 v[64:67], v131 offset0:168 offset1:252
	ds_read2_b64 v[72:75], v88 offset0:80 offset1:164
	;; [unrolled: 1-line block ×4, first 2 shown]
	ds_read_b64 v[86:87], v131 offset:6720
	s_and_saveexec_b64 s[4:5], s[2:3]
	s_cbranch_execz .LBB0_29
; %bb.28:
	v_add_u32_e32 v24, 0x400, v131
	ds_read2_b64 v[20:23], v131 offset0:44 offset1:128
	ds_read2_b64 v[24:27], v24 offset0:84 offset1:168
	ds_read2_b64 v[28:31], v88 offset0:124 offset1:208
	ds_read2_b64 v[32:35], v89 offset0:36 offset1:120
	v_add_u32_e32 v36, 0x1400, v131
	ds_read2_b64 v[36:39], v36 offset0:76 offset1:160
	ds_read_b64 v[82:83], v131 offset:7072
.LBB0_29:
	s_or_b64 exec, exec, s[4:5]
	s_and_saveexec_b64 s[4:5], s[0:1]
	s_cbranch_execz .LBB0_32
; %bb.30:
	v_mul_u32_u24_e32 v88, 10, v130
	v_lshlrev_b32_e32 v124, 4, v88
	global_load_dwordx4 v[88:91], v124, s[8:9] offset:1376
	global_load_dwordx4 v[92:95], v124, s[8:9] offset:1392
	;; [unrolled: 1-line block ×9, first 2 shown]
	s_nop 0
	global_load_dwordx4 v[124:127], v124, s[8:9] offset:1456
	s_mov_b32 s22, 0xfd768dbf
	s_mov_b32 s23, 0xbfd207e7
	;; [unrolled: 1-line block ×28, first 2 shown]
	v_mov_b32_e32 v131, 0
	s_waitcnt vmcnt(9) lgkmcnt(3)
	v_mul_f64 v[128:129], v[74:75], v[90:91]
	v_mul_f64 v[90:91], v[58:59], v[90:91]
	s_waitcnt vmcnt(8) lgkmcnt(2)
	v_mul_f64 v[135:136], v[76:77], v[94:95]
	s_waitcnt vmcnt(6)
	v_mul_f64 v[139:140], v[78:79], v[102:103]
	v_mul_f64 v[102:103], v[62:63], v[102:103]
	s_waitcnt vmcnt(4) lgkmcnt(1)
	v_mul_f64 v[143:144], v[68:69], v[110:111]
	v_mul_f64 v[110:111], v[52:53], v[110:111]
	;; [unrolled: 1-line block ×3, first 2 shown]
	s_waitcnt vmcnt(1)
	v_mul_f64 v[149:150], v[46:47], v[122:123]
	s_waitcnt vmcnt(0) lgkmcnt(0)
	v_mul_f64 v[151:152], v[86:87], v[126:127]
	v_mul_f64 v[137:138], v[72:73], v[98:99]
	;; [unrolled: 1-line block ×11, first 2 shown]
	v_fma_f64 v[74:75], v[74:75], v[88:89], -v[90:91]
	v_fma_f64 v[90:91], v[62:63], v[100:101], v[139:140]
	v_fma_f64 v[78:79], v[78:79], v[100:101], -v[102:103]
	v_fma_f64 v[100:101], v[68:69], v[108:109], -v[110:111]
	v_fma_f64 v[42:43], v[42:43], v[120:121], v[149:150]
	v_fma_f64 v[110:111], v[84:85], v[124:125], v[151:152]
	;; [unrolled: 1-line block ×4, first 2 shown]
	v_fma_f64 v[76:77], v[76:77], v[92:93], -v[94:95]
	v_fma_f64 v[88:89], v[56:57], v[96:97], v[137:138]
	v_fma_f64 v[92:93], v[72:73], v[96:97], -v[98:99]
	v_fma_f64 v[94:95], v[50:51], v[104:105], v[141:142]
	v_fma_f64 v[96:97], v[52:53], v[108:109], v[143:144]
	v_fma_f64 v[98:99], v[66:67], v[104:105], -v[106:107]
	v_fma_f64 v[102:103], v[48:49], v[112:113], v[145:146]
	v_fma_f64 v[104:105], v[54:55], v[116:117], v[147:148]
	v_fma_f64 v[106:107], v[64:65], v[112:113], -v[114:115]
	v_fma_f64 v[108:109], v[70:71], v[116:117], -v[118:119]
	;; [unrolled: 1-line block ×4, first 2 shown]
	v_add_f64 v[70:71], v[42:43], -v[110:111]
	v_add_f64 v[86:87], v[128:129], -v[135:136]
	;; [unrolled: 1-line block ×5, first 2 shown]
	v_add_f64 v[126:127], v[106:107], v[108:109]
	v_add_f64 v[153:154], v[106:107], -v[108:109]
	v_add_f64 v[137:138], v[84:85], v[112:113]
	v_add_f64 v[157:158], v[84:85], -v[112:113]
	v_mul_f64 v[54:55], v[70:71], s[22:23]
	v_add_f64 v[155:156], v[42:43], v[110:111]
	v_mul_f64 v[52:53], v[124:125], s[18:19]
	v_add_f64 v[114:115], v[74:75], v[76:77]
	v_add_f64 v[118:119], v[92:93], v[78:79]
	;; [unrolled: 1-line block ×3, first 2 shown]
	v_add_f64 v[149:150], v[98:99], -v[100:101]
	v_mul_f64 v[64:65], v[157:158], s[22:23]
	v_fma_f64 v[169:170], v[137:138], s[26:27], v[54:55]
	v_add_f64 v[151:152], v[102:103], v[104:105]
	v_mul_f64 v[46:47], v[86:87], s[0:1]
	v_mul_f64 v[48:49], v[116:117], s[4:5]
	;; [unrolled: 1-line block ×4, first 2 shown]
	v_fma_f64 v[177:178], v[126:127], s[20:21], v[52:53]
	v_fma_f64 v[183:184], v[155:156], s[26:27], -v[64:65]
	v_add_f64 v[169:170], v[44:45], v[169:170]
	v_add_f64 v[147:148], v[94:95], v[96:97]
	v_mul_f64 v[60:61], v[149:150], s[14:15]
	v_mul_f64 v[159:160], v[70:71], s[14:15]
	;; [unrolled: 1-line block ×3, first 2 shown]
	v_fma_f64 v[171:172], v[114:115], s[6:7], v[46:47]
	v_fma_f64 v[173:174], v[118:119], s[10:11], v[48:49]
	;; [unrolled: 1-line block ×3, first 2 shown]
	v_fma_f64 v[187:188], v[151:152], s[20:21], -v[62:63]
	v_fma_f64 v[189:190], v[114:115], s[6:7], -v[46:47]
	;; [unrolled: 1-line block ×5, first 2 shown]
	v_add_f64 v[54:55], v[40:41], v[183:184]
	v_add_f64 v[169:170], v[177:178], v[169:170]
	v_mul_f64 v[72:73], v[124:125], s[24:25]
	v_mul_f64 v[165:166], v[153:154], s[24:25]
	v_fma_f64 v[185:186], v[147:148], s[16:17], -v[60:61]
	v_fma_f64 v[52:53], v[126:127], s[20:21], -v[52:53]
	v_fma_f64 v[64:65], v[155:156], s[26:27], v[64:65]
	v_fma_f64 v[177:178], v[137:138], s[16:17], v[159:160]
	v_add_f64 v[50:51], v[44:45], v[50:51]
	v_add_f64 v[54:55], v[187:188], v[54:55]
	v_add_f64 v[169:170], v[175:176], v[169:170]
	v_fma_f64 v[175:176], v[155:156], s[16:17], -v[167:168]
	v_add_f64 v[145:146], v[92:93], -v[78:79]
	v_mul_f64 v[68:69], v[120:121], s[28:29]
	v_mul_f64 v[163:164], v[149:150], s[28:29]
	v_fma_f64 v[62:63], v[151:152], s[20:21], v[62:63]
	v_fma_f64 v[183:184], v[126:127], s[6:7], v[72:73]
	v_add_f64 v[64:65], v[40:41], v[64:65]
	v_fma_f64 v[187:188], v[151:152], s[6:7], -v[165:166]
	v_add_f64 v[177:178], v[44:45], v[177:178]
	v_add_f64 v[50:51], v[52:53], v[50:51]
	;; [unrolled: 1-line block ×5, first 2 shown]
	v_add_f64 v[141:142], v[74:75], -v[76:77]
	v_add_f64 v[143:144], v[88:89], v[90:91]
	v_mul_f64 v[58:59], v[145:146], s[4:5]
	v_mul_f64 v[66:67], v[116:117], s[22:23]
	v_fma_f64 v[60:61], v[147:148], s[16:17], v[60:61]
	v_fma_f64 v[173:174], v[122:123], s[20:21], v[68:69]
	v_add_f64 v[62:63], v[62:63], v[64:65]
	v_fma_f64 v[64:65], v[147:148], s[20:21], -v[163:164]
	v_add_f64 v[175:176], v[183:184], v[177:178]
	v_add_f64 v[50:51], v[48:49], v[50:51]
	;; [unrolled: 1-line block ×5, first 2 shown]
	v_mul_f64 v[56:57], v[141:142], s[0:1]
	v_fma_f64 v[181:182], v[143:144], s[10:11], -v[58:59]
	v_fma_f64 v[58:59], v[143:144], s[10:11], v[58:59]
	v_add_f64 v[60:61], v[60:61], v[62:63]
	v_mul_f64 v[62:63], v[86:87], s[4:5]
	v_fma_f64 v[169:170], v[118:119], s[26:27], v[66:67]
	v_add_f64 v[171:172], v[173:174], v[175:176]
	v_add_f64 v[54:55], v[64:65], v[54:55]
	v_fma_f64 v[64:65], v[137:138], s[16:17], -v[159:160]
	v_fma_f64 v[179:180], v[139:140], s[6:7], -v[56:57]
	v_add_f64 v[52:53], v[181:182], v[52:53]
	v_add_f64 v[50:51], v[46:47], v[50:51]
	v_fma_f64 v[56:57], v[139:140], s[6:7], v[56:57]
	v_add_f64 v[58:59], v[58:59], v[60:61]
	v_fma_f64 v[60:61], v[114:115], s[10:11], v[62:63]
	v_add_f64 v[159:160], v[169:170], v[171:172]
	v_fma_f64 v[72:73], v[126:127], s[6:7], -v[72:73]
	v_fma_f64 v[167:168], v[155:156], s[16:17], v[167:168]
	v_add_f64 v[64:65], v[44:45], v[64:65]
	v_mul_f64 v[161:162], v[145:146], s[22:23]
	v_add_f64 v[46:47], v[179:180], v[52:53]
	v_add_f64 v[52:53], v[189:190], v[50:51]
	;; [unrolled: 1-line block ×4, first 2 shown]
	v_fma_f64 v[58:59], v[122:123], s[20:21], -v[68:69]
	v_mul_f64 v[68:69], v[70:71], s[0:1]
	v_fma_f64 v[60:61], v[151:152], s[6:7], v[165:166]
	v_add_f64 v[159:160], v[40:41], v[167:168]
	v_add_f64 v[64:65], v[72:73], v[64:65]
	v_mul_f64 v[173:174], v[141:142], s[4:5]
	v_fma_f64 v[175:176], v[143:144], s[26:27], -v[161:162]
	v_fma_f64 v[66:67], v[118:119], s[26:27], -v[66:67]
	v_mul_f64 v[72:73], v[124:125], s[34:35]
	v_fma_f64 v[165:166], v[137:138], s[6:7], v[68:69]
	v_fma_f64 v[163:164], v[147:148], s[20:21], v[163:164]
	v_add_f64 v[60:61], v[60:61], v[159:160]
	v_add_f64 v[58:59], v[58:59], v[64:65]
	v_mul_f64 v[64:65], v[157:158], s[0:1]
	v_fma_f64 v[169:170], v[139:140], s[10:11], -v[173:174]
	v_add_f64 v[54:55], v[175:176], v[54:55]
	v_fma_f64 v[62:63], v[114:115], s[10:11], -v[62:63]
	v_mul_f64 v[159:160], v[120:121], s[4:5]
	v_fma_f64 v[167:168], v[126:127], s[26:27], v[72:73]
	v_add_f64 v[165:166], v[44:45], v[165:166]
	v_fma_f64 v[161:162], v[143:144], s[26:27], v[161:162]
	v_add_f64 v[60:61], v[163:164], v[60:61]
	v_add_f64 v[58:59], v[66:67], v[58:59]
	v_mul_f64 v[66:67], v[153:154], s[34:35]
	v_fma_f64 v[163:164], v[155:156], s[6:7], -v[64:65]
	v_add_f64 v[54:55], v[169:170], v[54:55]
	v_mul_f64 v[169:170], v[116:117], s[28:29]
	v_fma_f64 v[171:172], v[122:123], s[10:11], v[159:160]
	v_add_f64 v[165:166], v[167:168], v[165:166]
	v_fma_f64 v[167:168], v[139:140], s[10:11], v[173:174]
	v_add_f64 v[161:162], v[161:162], v[60:61]
	v_mul_f64 v[173:174], v[149:150], s[4:5]
	v_fma_f64 v[175:176], v[151:152], s[26:27], -v[66:67]
	v_add_f64 v[163:164], v[40:41], v[163:164]
	v_add_f64 v[60:61], v[62:63], v[58:59]
	v_fma_f64 v[62:63], v[137:138], s[6:7], -v[68:69]
	v_fma_f64 v[179:180], v[118:119], s[20:21], v[169:170]
	v_add_f64 v[165:166], v[171:172], v[165:166]
	v_mul_f64 v[68:69], v[145:146], s[28:29]
	v_fma_f64 v[171:172], v[147:148], s[10:11], -v[173:174]
	v_fma_f64 v[72:73], v[126:127], s[26:27], -v[72:73]
	v_add_f64 v[163:164], v[175:176], v[163:164]
	v_fma_f64 v[159:160], v[122:123], s[10:11], -v[159:160]
	v_add_f64 v[62:63], v[44:45], v[62:63]
	v_fma_f64 v[64:65], v[155:156], s[6:7], v[64:65]
	v_add_f64 v[165:166], v[179:180], v[165:166]
	v_fma_f64 v[175:176], v[143:144], s[20:21], -v[68:69]
	v_mul_f64 v[179:180], v[157:158], s[30:31]
	v_fma_f64 v[66:67], v[151:152], s[26:27], v[66:67]
	v_add_f64 v[163:164], v[171:172], v[163:164]
	v_mul_f64 v[171:172], v[70:71], s[30:31]
	v_add_f64 v[62:63], v[72:73], v[62:63]
	v_add_f64 v[64:65], v[40:41], v[64:65]
	;; [unrolled: 1-line block ×4, first 2 shown]
	v_fma_f64 v[183:184], v[155:156], s[10:11], -v[179:180]
	v_mul_f64 v[185:186], v[120:121], s[34:35]
	v_add_f64 v[163:164], v[175:176], v[163:164]
	v_mul_f64 v[175:176], v[124:125], s[14:15]
	v_fma_f64 v[181:182], v[137:138], s[10:11], v[171:172]
	v_add_f64 v[62:63], v[159:160], v[62:63]
	v_mul_f64 v[159:160], v[153:154], s[14:15]
	v_mul_f64 v[189:190], v[149:150], s[34:35]
	v_add_f64 v[183:184], v[40:41], v[183:184]
	v_fma_f64 v[173:174], v[147:148], s[10:11], v[173:174]
	v_add_f64 v[64:65], v[66:67], v[64:65]
	v_fma_f64 v[187:188], v[126:127], s[16:17], v[175:176]
	v_add_f64 v[181:182], v[44:45], v[181:182]
	v_add_f64 v[84:85], v[106:107], v[84:85]
	v_fma_f64 v[191:192], v[151:152], s[16:17], -v[159:160]
	v_add_f64 v[42:43], v[102:103], v[42:43]
	v_mul_f64 v[177:178], v[86:87], s[14:15]
	v_add_f64 v[58:59], v[167:168], v[161:162]
	v_mul_f64 v[167:168], v[141:142], s[14:15]
	v_mul_f64 v[193:194], v[116:117], s[24:25]
	v_fma_f64 v[66:67], v[122:123], s[26:27], v[185:186]
	v_add_f64 v[181:182], v[187:188], v[181:182]
	v_fma_f64 v[195:196], v[147:148], s[26:27], -v[189:190]
	v_add_f64 v[183:184], v[191:192], v[183:184]
	v_fma_f64 v[68:69], v[143:144], s[20:21], v[68:69]
	v_add_f64 v[64:65], v[173:174], v[64:65]
	v_add_f64 v[84:85], v[98:99], v[84:85]
	;; [unrolled: 1-line block ×3, first 2 shown]
	v_fma_f64 v[161:162], v[114:115], s[16:17], v[177:178]
	v_fma_f64 v[72:73], v[139:140], s[16:17], -v[167:168]
	v_fma_f64 v[191:192], v[118:119], s[6:7], v[193:194]
	v_add_f64 v[66:67], v[66:67], v[181:182]
	v_add_f64 v[183:184], v[195:196], v[183:184]
	v_fma_f64 v[167:168], v[139:140], s[16:17], v[167:168]
	v_add_f64 v[195:196], v[68:69], v[64:65]
	v_mul_f64 v[98:99], v[157:158], s[28:29]
	v_add_f64 v[84:85], v[92:93], v[84:85]
	v_add_f64 v[42:43], v[88:89], v[42:43]
	v_fma_f64 v[169:170], v[118:119], s[20:21], -v[169:170]
	v_add_f64 v[64:65], v[161:162], v[165:166]
	v_mul_f64 v[161:162], v[70:71], s[28:29]
	v_add_f64 v[191:192], v[191:192], v[66:67]
	v_add_f64 v[66:67], v[167:168], v[195:196]
	v_fma_f64 v[167:168], v[155:156], s[10:11], v[179:180]
	v_mul_f64 v[88:89], v[153:154], s[30:31]
	v_fma_f64 v[92:93], v[155:156], s[20:21], -v[98:99]
	v_fma_f64 v[98:99], v[155:156], s[20:21], v[98:99]
	v_add_f64 v[74:75], v[74:75], v[84:85]
	v_add_f64 v[42:43], v[128:129], v[42:43]
	v_fma_f64 v[177:178], v[114:115], s[16:17], -v[177:178]
	v_add_f64 v[169:170], v[169:170], v[62:63]
	v_add_f64 v[62:63], v[72:73], v[163:164]
	v_fma_f64 v[163:164], v[137:138], s[10:11], -v[171:172]
	v_mul_f64 v[124:125], v[124:125], s[30:31]
	v_fma_f64 v[171:172], v[137:138], s[20:21], v[161:162]
	v_fma_f64 v[137:138], v[137:138], s[20:21], -v[161:162]
	v_add_f64 v[167:168], v[40:41], v[167:168]
	v_mul_f64 v[149:150], v[149:150], s[0:1]
	v_fma_f64 v[84:85], v[151:152], s[10:11], -v[88:89]
	v_add_f64 v[92:93], v[40:41], v[92:93]
	v_fma_f64 v[88:89], v[151:152], s[10:11], v[88:89]
	v_add_f64 v[40:41], v[40:41], v[98:99]
	v_add_f64 v[74:75], v[76:77], v[74:75]
	;; [unrolled: 1-line block ×4, first 2 shown]
	v_fma_f64 v[169:170], v[126:127], s[16:17], -v[175:176]
	v_add_f64 v[163:164], v[44:45], v[163:164]
	v_fma_f64 v[159:160], v[151:152], s[16:17], v[159:160]
	v_mul_f64 v[120:121], v[120:121], s[0:1]
	v_fma_f64 v[177:178], v[126:127], s[10:11], v[124:125]
	v_add_f64 v[171:172], v[44:45], v[171:172]
	v_fma_f64 v[124:125], v[126:127], s[10:11], -v[124:125]
	v_add_f64 v[44:45], v[44:45], v[137:138]
	v_mul_f64 v[187:188], v[145:146], s[24:25]
	v_mul_f64 v[145:146], v[145:146], s[14:15]
	v_fma_f64 v[76:77], v[147:148], s[6:7], -v[149:150]
	v_add_f64 v[84:85], v[84:85], v[92:93]
	v_fma_f64 v[98:99], v[147:148], s[6:7], v[149:150]
	v_add_f64 v[40:41], v[88:89], v[40:41]
	v_add_f64 v[74:75], v[78:79], v[74:75]
	;; [unrolled: 1-line block ×4, first 2 shown]
	v_fma_f64 v[169:170], v[147:148], s[26:27], v[189:190]
	v_add_f64 v[159:160], v[159:160], v[167:168]
	v_mul_f64 v[116:117], v[116:117], s[14:15]
	v_fma_f64 v[92:93], v[122:123], s[6:7], -v[120:121]
	v_add_f64 v[44:45], v[124:125], v[44:45]
	v_mul_f64 v[173:174], v[86:87], s[18:19]
	v_fma_f64 v[175:176], v[122:123], s[26:27], -v[185:186]
	v_fma_f64 v[167:168], v[122:123], s[6:7], v[120:121]
	v_add_f64 v[171:172], v[177:178], v[171:172]
	v_mul_f64 v[181:182], v[141:142], s[18:19]
	v_mul_f64 v[141:142], v[141:142], s[22:23]
	v_fma_f64 v[78:79], v[143:144], s[16:17], -v[145:146]
	v_add_f64 v[76:77], v[76:77], v[84:85]
	v_fma_f64 v[88:89], v[143:144], s[16:17], v[145:146]
	v_add_f64 v[40:41], v[98:99], v[40:41]
	v_add_f64 v[74:75], v[100:101], v[74:75]
	;; [unrolled: 1-line block ×3, first 2 shown]
	v_fma_f64 v[102:103], v[143:144], s[6:7], v[187:188]
	v_add_f64 v[106:107], v[169:170], v[159:160]
	v_mul_f64 v[86:87], v[86:87], s[22:23]
	v_fma_f64 v[84:85], v[118:119], s[16:17], -v[116:117]
	v_add_f64 v[44:45], v[92:93], v[44:45]
	v_fma_f64 v[199:200], v[114:115], s[20:21], v[173:174]
	v_fma_f64 v[165:166], v[114:115], s[20:21], -v[173:174]
	v_fma_f64 v[173:174], v[118:119], s[6:7], -v[193:194]
	v_add_f64 v[163:164], v[175:176], v[163:164]
	v_fma_f64 v[159:160], v[118:119], s[16:17], v[116:117]
	v_add_f64 v[167:168], v[167:168], v[171:172]
	v_fma_f64 v[197:198], v[143:144], s[6:7], -v[187:188]
	v_fma_f64 v[90:91], v[139:140], s[26:27], -v[141:142]
	v_add_f64 v[78:79], v[78:79], v[76:77]
	v_add_f64 v[40:41], v[88:89], v[40:41]
	;; [unrolled: 1-line block ×5, first 2 shown]
	v_fma_f64 v[106:107], v[114:115], s[26:27], v[86:87]
	v_fma_f64 v[86:87], v[114:115], s[26:27], -v[86:87]
	v_add_f64 v[84:85], v[84:85], v[44:45]
	v_fma_f64 v[92:93], v[139:140], s[26:27], v[141:142]
	v_add_f64 v[163:164], v[173:174], v[163:164]
	v_fma_f64 v[94:95], v[139:140], s[20:21], v[181:182]
	v_add_f64 v[157:158], v[159:160], v[167:168]
	v_fma_f64 v[201:202], v[139:140], s[20:21], -v[181:182]
	v_add_f64 v[183:184], v[197:198], v[183:184]
	v_add_f64 v[74:75], v[90:91], v[78:79]
	;; [unrolled: 1-line block ×8, first 2 shown]
	v_mov_b32_e32 v40, s13
	v_add_co_u32_e32 v78, vcc, s12, v132
	v_addc_co_u32_e32 v79, vcc, v40, v133, vcc
	v_lshlrev_b64 v[40:41], 4, v[130:131]
	v_add_f64 v[76:77], v[106:107], v[157:158]
	v_add_co_u32_e32 v40, vcc, v78, v40
	v_addc_co_u32_e32 v41, vcc, v79, v41, vcc
	s_movk_i32 s12, 0x1000
	v_add_f64 v[72:73], v[199:200], v[191:192]
	v_add_f64 v[70:71], v[201:202], v[183:184]
	global_store_dwordx4 v[40:41], v[88:91], off
	global_store_dwordx4 v[40:41], v[84:87], off offset:1344
	global_store_dwordx4 v[40:41], v[42:45], off offset:2688
	;; [unrolled: 1-line block ×3, first 2 shown]
	v_add_co_u32_e32 v42, vcc, s12, v40
	v_addc_co_u32_e32 v43, vcc, 0, v41, vcc
	s_movk_i32 s12, 0x2000
	v_add_co_u32_e32 v44, vcc, s12, v40
	v_addc_co_u32_e32 v45, vcc, 0, v41, vcc
	global_store_dwordx4 v[42:43], v[58:61], off offset:1280
	global_store_dwordx4 v[42:43], v[50:53], off offset:2624
	;; [unrolled: 1-line block ×6, first 2 shown]
	v_add_co_u32_e32 v46, vcc, 0x3000, v40
	v_addc_co_u32_e32 v47, vcc, 0, v41, vcc
	global_store_dwordx4 v[46:47], v[74:77], off offset:1152
	s_and_b64 exec, exec, s[2:3]
	s_cbranch_execz .LBB0_32
; %bb.31:
	v_subrev_u32_e32 v46, 40, v130
	v_cndmask_b32_e64 v46, v46, v134, s[2:3]
	v_mul_i32_i24_e32 v130, 10, v46
	v_lshlrev_b64 v[46:47], 4, v[130:131]
	v_mov_b32_e32 v48, s9
	v_add_co_u32_e32 v78, vcc, s8, v46
	v_addc_co_u32_e32 v79, vcc, v48, v47, vcc
	global_load_dwordx4 v[46:49], v[78:79], off offset:1312
	global_load_dwordx4 v[50:53], v[78:79], off offset:1328
	;; [unrolled: 1-line block ×10, first 2 shown]
	s_mov_b32 s3, 0x3fe82f19
	s_mov_b32 s2, s14
	s_waitcnt vmcnt(9)
	v_mul_f64 v[78:79], v[22:23], v[48:49]
	v_mul_f64 v[48:49], v[2:3], v[48:49]
	s_waitcnt vmcnt(8)
	v_mul_f64 v[92:93], v[24:25], v[52:53]
	v_mul_f64 v[52:53], v[4:5], v[52:53]
	;; [unrolled: 3-line block ×5, first 2 shown]
	v_fma_f64 v[2:3], v[2:3], v[46:47], v[78:79]
	v_fma_f64 v[22:23], v[22:23], v[46:47], -v[48:49]
	v_mul_f64 v[98:99], v[30:31], v[64:65]
	v_mul_f64 v[64:65], v[10:11], v[64:65]
	v_fma_f64 v[4:5], v[4:5], v[50:51], v[92:93]
	v_fma_f64 v[24:25], v[24:25], v[50:51], -v[52:53]
	v_fma_f64 v[18:19], v[18:19], v[84:85], v[106:107]
	v_fma_f64 v[38:39], v[38:39], v[84:85], -v[86:87]
	v_add_f64 v[50:51], v[0:1], v[2:3]
	v_add_f64 v[52:53], v[20:21], v[22:23]
	v_fma_f64 v[6:7], v[6:7], v[54:55], v[94:95]
	v_fma_f64 v[26:27], v[26:27], v[54:55], -v[56:57]
	v_fma_f64 v[8:9], v[8:9], v[58:59], v[96:97]
	v_fma_f64 v[28:29], v[28:29], v[58:59], -v[60:61]
	;; [unrolled: 2-line block ×3, first 2 shown]
	v_add_f64 v[58:59], v[4:5], v[18:19]
	v_add_f64 v[60:61], v[24:25], v[38:39]
	v_add_f64 v[62:63], v[4:5], -v[18:19]
	v_add_f64 v[64:65], v[24:25], -v[38:39]
	v_add_f64 v[4:5], v[50:51], v[4:5]
	v_add_f64 v[24:25], v[52:53], v[24:25]
	s_waitcnt vmcnt(0)
	v_mul_f64 v[108:109], v[82:83], v[90:91]
	v_mul_f64 v[90:91], v[80:81], v[90:91]
	;; [unrolled: 1-line block ×6, first 2 shown]
	v_add_f64 v[4:5], v[4:5], v[6:7]
	v_add_f64 v[24:25], v[24:25], v[26:27]
	v_mul_f64 v[104:105], v[36:37], v[76:77]
	v_fma_f64 v[48:49], v[82:83], v[88:89], -v[90:91]
	v_mul_f64 v[76:77], v[16:17], v[76:77]
	v_fma_f64 v[12:13], v[12:13], v[66:67], v[100:101]
	v_fma_f64 v[32:33], v[32:33], v[66:67], -v[68:69]
	v_fma_f64 v[46:47], v[80:81], v[88:89], v[108:109]
	v_add_f64 v[4:5], v[4:5], v[8:9]
	v_add_f64 v[24:25], v[24:25], v[28:29]
	v_fma_f64 v[14:15], v[14:15], v[70:71], v[102:103]
	v_add_f64 v[56:57], v[22:23], v[48:49]
	v_add_f64 v[22:23], v[22:23], -v[48:49]
	v_fma_f64 v[34:35], v[34:35], v[70:71], -v[72:73]
	v_fma_f64 v[16:17], v[16:17], v[74:75], v[104:105]
	v_fma_f64 v[36:37], v[36:37], v[74:75], -v[76:77]
	v_add_f64 v[4:5], v[4:5], v[10:11]
	v_add_f64 v[24:25], v[24:25], v[30:31]
	;; [unrolled: 1-line block ×3, first 2 shown]
	v_add_f64 v[2:3], v[2:3], -v[46:47]
	v_mul_f64 v[50:51], v[22:23], s[28:29]
	v_mul_f64 v[52:53], v[56:57], s[20:21]
	;; [unrolled: 1-line block ×10, first 2 shown]
	v_add_f64 v[4:5], v[4:5], v[12:13]
	v_add_f64 v[24:25], v[24:25], v[32:33]
	v_fma_f64 v[94:95], v[54:55], s[20:21], v[50:51]
	v_fma_f64 v[96:97], v[2:3], s[18:19], v[52:53]
	v_fma_f64 v[50:51], v[54:55], s[20:21], -v[50:51]
	v_fma_f64 v[52:53], v[2:3], s[28:29], v[52:53]
	v_fma_f64 v[98:99], v[54:55], s[10:11], v[66:67]
	v_fma_f64 v[100:101], v[2:3], s[4:5], v[68:69]
	v_fma_f64 v[66:67], v[54:55], s[10:11], -v[66:67]
	v_fma_f64 v[68:69], v[2:3], s[30:31], v[68:69]
	;; [unrolled: 4-line block ×5, first 2 shown]
	v_add_f64 v[4:5], v[4:5], v[14:15]
	v_add_f64 v[24:25], v[24:25], v[34:35]
	v_mul_f64 v[78:79], v[64:65], s[30:31]
	v_add_f64 v[94:95], v[0:1], v[94:95]
	v_add_f64 v[96:97], v[20:21], v[96:97]
	v_add_f64 v[50:51], v[0:1], v[50:51]
	v_add_f64 v[52:53], v[20:21], v[52:53]
	v_add_f64 v[98:99], v[0:1], v[98:99]
	v_add_f64 v[100:101], v[20:21], v[100:101]
	v_add_f64 v[66:67], v[0:1], v[66:67]
	v_add_f64 v[68:69], v[20:21], v[68:69]
	v_add_f64 v[102:103], v[0:1], v[102:103]
	v_add_f64 v[104:105], v[20:21], v[104:105]
	v_add_f64 v[70:71], v[0:1], v[70:71]
	v_add_f64 v[72:73], v[20:21], v[72:73]
	v_add_f64 v[106:107], v[0:1], v[106:107]
	v_add_f64 v[108:109], v[20:21], v[108:109]
	v_add_f64 v[74:75], v[0:1], v[74:75]
	v_add_f64 v[76:77], v[20:21], v[76:77]
	v_add_f64 v[110:111], v[0:1], v[110:111]
	v_add_f64 v[112:113], v[20:21], v[112:113]
	v_add_f64 v[22:23], v[0:1], v[22:23]
	v_add_f64 v[20:21], v[20:21], v[2:3]
	v_add_f64 v[0:1], v[4:5], v[16:17]
	v_add_f64 v[2:3], v[24:25], v[36:37]
	v_mul_f64 v[80:81], v[60:61], s[10:11]
	v_mul_f64 v[82:83], v[64:65], s[14:15]
	;; [unrolled: 1-line block ×4, first 2 shown]
	v_fma_f64 v[54:55], v[58:59], s[10:11], v[78:79]
	v_fma_f64 v[78:79], v[58:59], s[10:11], -v[78:79]
	v_add_f64 v[0:1], v[0:1], v[18:19]
	v_add_f64 v[2:3], v[2:3], v[38:39]
	v_mul_f64 v[84:85], v[60:61], s[16:17]
	v_mul_f64 v[86:87], v[64:65], s[34:35]
	v_fma_f64 v[56:57], v[62:63], s[4:5], v[80:81]
	v_fma_f64 v[80:81], v[62:63], s[30:31], v[80:81]
	;; [unrolled: 1-line block ×3, first 2 shown]
	v_fma_f64 v[82:83], v[58:59], s[16:17], -v[82:83]
	v_fma_f64 v[122:123], v[58:59], s[6:7], v[90:91]
	v_fma_f64 v[124:125], v[62:63], s[0:1], v[92:93]
	v_fma_f64 v[90:91], v[58:59], s[6:7], -v[90:91]
	v_fma_f64 v[92:93], v[62:63], s[24:25], v[92:93]
	v_add_f64 v[50:51], v[78:79], v[50:51]
	v_add_f64 v[0:1], v[0:1], v[46:47]
	;; [unrolled: 1-line block ×3, first 2 shown]
	v_mul_f64 v[46:47], v[64:65], s[18:19]
	v_mul_f64 v[48:49], v[60:61], s[20:21]
	v_add_f64 v[78:79], v[26:27], -v[36:37]
	v_mul_f64 v[88:89], v[60:61], s[26:27]
	v_fma_f64 v[116:117], v[62:63], s[2:3], v[84:85]
	v_fma_f64 v[84:85], v[62:63], s[14:15], v[84:85]
	;; [unrolled: 1-line block ×3, first 2 shown]
	v_fma_f64 v[86:87], v[58:59], s[26:27], -v[86:87]
	v_add_f64 v[52:53], v[80:81], v[52:53]
	v_add_f64 v[18:19], v[82:83], v[66:67]
	v_add_f64 v[26:27], v[26:27], v[36:37]
	v_add_f64 v[36:37], v[90:91], v[74:75]
	v_add_f64 v[74:75], v[92:93], v[76:77]
	v_fma_f64 v[76:77], v[58:59], s[20:21], v[46:47]
	v_fma_f64 v[80:81], v[62:63], s[28:29], v[48:49]
	v_add_f64 v[82:83], v[6:7], v[16:17]
	v_add_f64 v[6:7], v[6:7], -v[16:17]
	v_mul_f64 v[16:17], v[78:79], s[0:1]
	v_fma_f64 v[120:121], v[62:63], s[22:23], v[88:89]
	v_fma_f64 v[88:89], v[62:63], s[34:35], v[88:89]
	v_add_f64 v[4:5], v[54:55], v[94:95]
	v_add_f64 v[38:39], v[84:85], v[68:69]
	;; [unrolled: 1-line block ×3, first 2 shown]
	v_mul_f64 v[84:85], v[26:27], s[6:7]
	v_fma_f64 v[46:47], v[58:59], s[20:21], -v[46:47]
	v_fma_f64 v[48:49], v[62:63], s[18:19], v[48:49]
	v_add_f64 v[58:59], v[76:77], v[110:111]
	v_add_f64 v[62:63], v[80:81], v[112:113]
	v_mul_f64 v[76:77], v[78:79], s[34:35]
	v_mul_f64 v[80:81], v[26:27], s[26:27]
	v_fma_f64 v[86:87], v[82:83], s[6:7], v[16:17]
	v_add_f64 v[24:25], v[56:57], v[96:97]
	v_add_f64 v[54:55], v[114:115], v[98:99]
	;; [unrolled: 1-line block ×4, first 2 shown]
	v_fma_f64 v[88:89], v[6:7], s[24:25], v[84:85]
	v_add_f64 v[22:23], v[46:47], v[22:23]
	v_add_f64 v[20:21], v[48:49], v[20:21]
	v_fma_f64 v[16:17], v[82:83], s[6:7], -v[16:17]
	v_fma_f64 v[46:47], v[6:7], s[0:1], v[84:85]
	v_fma_f64 v[48:49], v[82:83], s[26:27], v[76:77]
	;; [unrolled: 1-line block ×3, first 2 shown]
	v_add_f64 v[4:5], v[86:87], v[4:5]
	v_mul_f64 v[86:87], v[78:79], s[4:5]
	v_add_f64 v[66:67], v[118:119], v[102:103]
	v_add_f64 v[24:25], v[88:89], v[24:25]
	v_mul_f64 v[88:89], v[26:27], s[10:11]
	v_add_f64 v[16:17], v[16:17], v[50:51]
	v_add_f64 v[46:47], v[46:47], v[52:53]
	v_add_f64 v[48:49], v[48:49], v[54:55]
	v_add_f64 v[50:51], v[84:85], v[56:57]
	v_fma_f64 v[52:53], v[82:83], s[26:27], -v[76:77]
	v_fma_f64 v[54:55], v[6:7], s[34:35], v[80:81]
	v_fma_f64 v[56:57], v[82:83], s[10:11], v[86:87]
	v_mul_f64 v[80:81], v[78:79], s[28:29]
	v_mul_f64 v[84:85], v[26:27], s[20:21]
	v_add_f64 v[68:69], v[120:121], v[104:105]
	v_add_f64 v[60:61], v[122:123], v[106:107]
	;; [unrolled: 1-line block ×3, first 2 shown]
	v_fma_f64 v[76:77], v[6:7], s[30:31], v[88:89]
	v_fma_f64 v[86:87], v[82:83], s[10:11], -v[86:87]
	v_fma_f64 v[88:89], v[6:7], s[4:5], v[88:89]
	v_add_f64 v[18:19], v[52:53], v[18:19]
	v_add_f64 v[52:53], v[56:57], v[66:67]
	v_fma_f64 v[56:57], v[82:83], s[20:21], v[80:81]
	v_fma_f64 v[66:67], v[6:7], s[18:19], v[84:85]
	v_add_f64 v[38:39], v[54:55], v[38:39]
	v_add_f64 v[54:55], v[76:77], v[68:69]
	;; [unrolled: 1-line block ×4, first 2 shown]
	v_mul_f64 v[72:73], v[78:79], s[14:15]
	v_mul_f64 v[26:27], v[26:27], s[16:17]
	v_fma_f64 v[76:77], v[82:83], s[20:21], -v[80:81]
	v_fma_f64 v[78:79], v[6:7], s[28:29], v[84:85]
	v_add_f64 v[56:57], v[56:57], v[60:61]
	v_add_f64 v[60:61], v[66:67], v[64:65]
	v_add_f64 v[64:65], v[28:29], -v[34:35]
	v_add_f64 v[28:29], v[28:29], v[34:35]
	v_fma_f64 v[34:35], v[82:83], s[16:17], v[72:73]
	v_fma_f64 v[66:67], v[6:7], s[2:3], v[26:27]
	v_add_f64 v[36:37], v[76:77], v[36:37]
	v_add_f64 v[74:75], v[78:79], v[74:75]
	v_add_f64 v[76:77], v[8:9], v[14:15]
	v_add_f64 v[8:9], v[8:9], -v[14:15]
	v_mul_f64 v[14:15], v[64:65], s[14:15]
	v_mul_f64 v[78:79], v[28:29], s[16:17]
	v_add_f64 v[34:35], v[34:35], v[58:59]
	v_add_f64 v[58:59], v[66:67], v[62:63]
	v_fma_f64 v[62:63], v[82:83], s[16:17], -v[72:73]
	v_fma_f64 v[6:7], v[6:7], s[14:15], v[26:27]
	v_mul_f64 v[26:27], v[64:65], s[24:25]
	v_mul_f64 v[66:67], v[28:29], s[6:7]
	v_fma_f64 v[72:73], v[76:77], s[16:17], v[14:15]
	v_fma_f64 v[80:81], v[8:9], s[2:3], v[78:79]
	v_fma_f64 v[14:15], v[76:77], s[16:17], -v[14:15]
	v_fma_f64 v[78:79], v[8:9], s[14:15], v[78:79]
	v_add_f64 v[22:23], v[62:63], v[22:23]
	v_add_f64 v[6:7], v[6:7], v[20:21]
	v_fma_f64 v[20:21], v[76:77], s[6:7], v[26:27]
	v_fma_f64 v[62:63], v[8:9], s[0:1], v[66:67]
	v_add_f64 v[4:5], v[72:73], v[4:5]
	v_mul_f64 v[72:73], v[28:29], s[20:21]
	v_add_f64 v[14:15], v[14:15], v[16:17]
	v_add_f64 v[16:17], v[78:79], v[46:47]
	v_mul_f64 v[46:47], v[64:65], s[28:29]
	v_fma_f64 v[26:27], v[76:77], s[6:7], -v[26:27]
	v_fma_f64 v[66:67], v[8:9], s[24:25], v[66:67]
	v_add_f64 v[24:25], v[80:81], v[24:25]
	v_add_f64 v[20:21], v[20:21], v[48:49]
	;; [unrolled: 1-line block ×3, first 2 shown]
	v_mul_f64 v[50:51], v[64:65], s[22:23]
	v_mul_f64 v[62:63], v[28:29], s[26:27]
	v_fma_f64 v[78:79], v[76:77], s[20:21], v[46:47]
	v_fma_f64 v[80:81], v[8:9], s[18:19], v[72:73]
	v_fma_f64 v[46:47], v[76:77], s[20:21], -v[46:47]
	v_fma_f64 v[72:73], v[8:9], s[28:29], v[72:73]
	v_add_f64 v[18:19], v[26:27], v[18:19]
	v_add_f64 v[26:27], v[66:67], v[38:39]
	v_add_f64 v[66:67], v[30:31], -v[32:33]
	v_add_f64 v[30:31], v[30:31], v[32:33]
	v_mul_f64 v[32:33], v[64:65], s[4:5]
	v_mul_f64 v[28:29], v[28:29], s[10:11]
	v_fma_f64 v[82:83], v[76:77], s[26:27], v[50:51]
	v_fma_f64 v[84:85], v[8:9], s[34:35], v[62:63]
	v_add_f64 v[38:39], v[78:79], v[52:53]
	v_add_f64 v[52:53], v[80:81], v[54:55]
	v_add_f64 v[46:47], v[46:47], v[68:69]
	v_add_f64 v[54:55], v[72:73], v[70:71]
	v_fma_f64 v[50:51], v[76:77], s[26:27], -v[50:51]
	v_fma_f64 v[62:63], v[8:9], s[22:23], v[62:63]
	v_add_f64 v[64:65], v[10:11], v[12:13]
	v_add_f64 v[68:69], v[10:11], -v[12:13]
	v_mul_f64 v[12:13], v[30:31], s[26:27]
	v_fma_f64 v[70:71], v[76:77], s[10:11], v[32:33]
	v_mul_f64 v[10:11], v[66:67], s[22:23]
	v_fma_f64 v[72:73], v[8:9], s[30:31], v[28:29]
	v_add_f64 v[36:37], v[50:51], v[36:37]
	v_add_f64 v[50:51], v[62:63], v[74:75]
	v_fma_f64 v[8:9], v[8:9], s[4:5], v[28:29]
	v_fma_f64 v[32:33], v[76:77], s[10:11], -v[32:33]
	v_fma_f64 v[62:63], v[68:69], s[34:35], v[12:13]
	v_add_f64 v[34:35], v[70:71], v[34:35]
	v_mul_f64 v[70:71], v[66:67], s[18:19]
	v_fma_f64 v[28:29], v[64:65], s[26:27], v[10:11]
	v_add_f64 v[58:59], v[72:73], v[58:59]
	v_mul_f64 v[72:73], v[30:31], s[20:21]
	v_add_f64 v[76:77], v[8:9], v[6:7]
	v_fma_f64 v[8:9], v[64:65], s[26:27], -v[10:11]
	v_add_f64 v[6:7], v[62:63], v[24:25]
	v_fma_f64 v[10:11], v[68:69], s[22:23], v[12:13]
	v_fma_f64 v[12:13], v[64:65], s[20:21], v[70:71]
	v_mul_f64 v[24:25], v[66:67], s[14:15]
	v_add_f64 v[74:75], v[32:33], v[22:23]
	v_add_f64 v[4:5], v[28:29], v[4:5]
	v_fma_f64 v[28:29], v[64:65], s[20:21], -v[70:71]
	v_fma_f64 v[32:33], v[68:69], s[18:19], v[72:73]
	v_fma_f64 v[22:23], v[68:69], s[28:29], v[72:73]
	v_mul_f64 v[62:63], v[30:31], s[16:17]
	v_add_f64 v[12:13], v[12:13], v[20:21]
	v_fma_f64 v[20:21], v[64:65], s[16:17], v[24:25]
	v_add_f64 v[10:11], v[10:11], v[16:17]
	v_fma_f64 v[24:25], v[64:65], s[16:17], -v[24:25]
	v_add_f64 v[16:17], v[28:29], v[18:19]
	v_add_f64 v[18:19], v[32:33], v[26:27]
	v_mul_f64 v[28:29], v[66:67], s[4:5]
	v_mul_f64 v[32:33], v[30:31], s[10:11]
	v_add_f64 v[8:9], v[8:9], v[14:15]
	v_add_f64 v[14:15], v[22:23], v[48:49]
	v_fma_f64 v[22:23], v[68:69], s[2:3], v[62:63]
	v_fma_f64 v[26:27], v[68:69], s[14:15], v[62:63]
	v_add_f64 v[20:21], v[20:21], v[38:39]
	v_mul_f64 v[38:39], v[66:67], s[0:1]
	v_mul_f64 v[30:31], v[30:31], s[6:7]
	v_add_f64 v[56:57], v[82:83], v[56:57]
	v_add_f64 v[60:61], v[84:85], v[60:61]
	;; [unrolled: 1-line block ×3, first 2 shown]
	v_fma_f64 v[46:47], v[64:65], s[10:11], v[28:29]
	v_fma_f64 v[48:49], v[68:69], s[30:31], v[32:33]
	v_add_f64 v[22:23], v[22:23], v[52:53]
	v_add_f64 v[26:27], v[26:27], v[54:55]
	v_fma_f64 v[52:53], v[64:65], s[10:11], -v[28:29]
	v_fma_f64 v[54:55], v[64:65], s[6:7], v[38:39]
	v_fma_f64 v[62:63], v[68:69], s[24:25], v[30:31]
	v_fma_f64 v[64:65], v[64:65], s[6:7], -v[38:39]
	v_fma_f64 v[66:67], v[68:69], s[0:1], v[30:31]
	v_fma_f64 v[68:69], v[68:69], s[4:5], v[32:33]
	v_add_f64 v[28:29], v[46:47], v[56:57]
	v_add_f64 v[30:31], v[48:49], v[60:61]
	;; [unrolled: 1-line block ×8, first 2 shown]
	global_store_dwordx4 v[40:41], v[0:3], off offset:704
	global_store_dwordx4 v[40:41], v[4:7], off offset:2048
	global_store_dwordx4 v[40:41], v[12:15], off offset:3392
	global_store_dwordx4 v[42:43], v[20:23], off offset:640
	global_store_dwordx4 v[42:43], v[28:31], off offset:1984
	global_store_dwordx4 v[42:43], v[36:39], off offset:3328
	global_store_dwordx4 v[44:45], v[46:49], off offset:576
	global_store_dwordx4 v[44:45], v[32:35], off offset:1920
	global_store_dwordx4 v[44:45], v[24:27], off offset:3264
	v_add_co_u32_e32 v0, vcc, 0x3000, v40
	v_addc_co_u32_e32 v1, vcc, 0, v41, vcc
	global_store_dwordx4 v[0:1], v[16:19], off offset:512
	global_store_dwordx4 v[0:1], v[8:11], off offset:1856
.LBB0_32:
	s_endpgm
	.section	.rodata,"a",@progbits
	.p2align	6, 0x0
	.amdhsa_kernel fft_rtc_back_len924_factors_2_2_3_7_11_wgs_44_tpt_44_halfLds_dp_ip_CI_unitstride_sbrr_dirReg
		.amdhsa_group_segment_fixed_size 0
		.amdhsa_private_segment_fixed_size 0
		.amdhsa_kernarg_size 88
		.amdhsa_user_sgpr_count 6
		.amdhsa_user_sgpr_private_segment_buffer 1
		.amdhsa_user_sgpr_dispatch_ptr 0
		.amdhsa_user_sgpr_queue_ptr 0
		.amdhsa_user_sgpr_kernarg_segment_ptr 1
		.amdhsa_user_sgpr_dispatch_id 0
		.amdhsa_user_sgpr_flat_scratch_init 0
		.amdhsa_user_sgpr_private_segment_size 0
		.amdhsa_uses_dynamic_stack 0
		.amdhsa_system_sgpr_private_segment_wavefront_offset 0
		.amdhsa_system_sgpr_workgroup_id_x 1
		.amdhsa_system_sgpr_workgroup_id_y 0
		.amdhsa_system_sgpr_workgroup_id_z 0
		.amdhsa_system_sgpr_workgroup_info 0
		.amdhsa_system_vgpr_workitem_id 0
		.amdhsa_next_free_vgpr 203
		.amdhsa_next_free_sgpr 36
		.amdhsa_reserve_vcc 1
		.amdhsa_reserve_flat_scratch 0
		.amdhsa_float_round_mode_32 0
		.amdhsa_float_round_mode_16_64 0
		.amdhsa_float_denorm_mode_32 3
		.amdhsa_float_denorm_mode_16_64 3
		.amdhsa_dx10_clamp 1
		.amdhsa_ieee_mode 1
		.amdhsa_fp16_overflow 0
		.amdhsa_exception_fp_ieee_invalid_op 0
		.amdhsa_exception_fp_denorm_src 0
		.amdhsa_exception_fp_ieee_div_zero 0
		.amdhsa_exception_fp_ieee_overflow 0
		.amdhsa_exception_fp_ieee_underflow 0
		.amdhsa_exception_fp_ieee_inexact 0
		.amdhsa_exception_int_div_zero 0
	.end_amdhsa_kernel
	.text
.Lfunc_end0:
	.size	fft_rtc_back_len924_factors_2_2_3_7_11_wgs_44_tpt_44_halfLds_dp_ip_CI_unitstride_sbrr_dirReg, .Lfunc_end0-fft_rtc_back_len924_factors_2_2_3_7_11_wgs_44_tpt_44_halfLds_dp_ip_CI_unitstride_sbrr_dirReg
                                        ; -- End function
	.section	.AMDGPU.csdata,"",@progbits
; Kernel info:
; codeLenInByte = 15332
; NumSgprs: 40
; NumVgprs: 203
; ScratchSize: 0
; MemoryBound: 1
; FloatMode: 240
; IeeeMode: 1
; LDSByteSize: 0 bytes/workgroup (compile time only)
; SGPRBlocks: 4
; VGPRBlocks: 50
; NumSGPRsForWavesPerEU: 40
; NumVGPRsForWavesPerEU: 203
; Occupancy: 1
; WaveLimiterHint : 1
; COMPUTE_PGM_RSRC2:SCRATCH_EN: 0
; COMPUTE_PGM_RSRC2:USER_SGPR: 6
; COMPUTE_PGM_RSRC2:TRAP_HANDLER: 0
; COMPUTE_PGM_RSRC2:TGID_X_EN: 1
; COMPUTE_PGM_RSRC2:TGID_Y_EN: 0
; COMPUTE_PGM_RSRC2:TGID_Z_EN: 0
; COMPUTE_PGM_RSRC2:TIDIG_COMP_CNT: 0
	.type	__hip_cuid_d2053d03eaaff68d,@object ; @__hip_cuid_d2053d03eaaff68d
	.section	.bss,"aw",@nobits
	.globl	__hip_cuid_d2053d03eaaff68d
__hip_cuid_d2053d03eaaff68d:
	.byte	0                               ; 0x0
	.size	__hip_cuid_d2053d03eaaff68d, 1

	.ident	"AMD clang version 19.0.0git (https://github.com/RadeonOpenCompute/llvm-project roc-6.4.0 25133 c7fe45cf4b819c5991fe208aaa96edf142730f1d)"
	.section	".note.GNU-stack","",@progbits
	.addrsig
	.addrsig_sym __hip_cuid_d2053d03eaaff68d
	.amdgpu_metadata
---
amdhsa.kernels:
  - .args:
      - .actual_access:  read_only
        .address_space:  global
        .offset:         0
        .size:           8
        .value_kind:     global_buffer
      - .offset:         8
        .size:           8
        .value_kind:     by_value
      - .actual_access:  read_only
        .address_space:  global
        .offset:         16
        .size:           8
        .value_kind:     global_buffer
      - .actual_access:  read_only
        .address_space:  global
        .offset:         24
        .size:           8
        .value_kind:     global_buffer
      - .offset:         32
        .size:           8
        .value_kind:     by_value
      - .actual_access:  read_only
        .address_space:  global
        .offset:         40
        .size:           8
        .value_kind:     global_buffer
      - .actual_access:  read_only
        .address_space:  global
        .offset:         48
        .size:           8
        .value_kind:     global_buffer
      - .offset:         56
        .size:           4
        .value_kind:     by_value
      - .actual_access:  read_only
        .address_space:  global
        .offset:         64
        .size:           8
        .value_kind:     global_buffer
      - .actual_access:  read_only
        .address_space:  global
        .offset:         72
        .size:           8
        .value_kind:     global_buffer
      - .address_space:  global
        .offset:         80
        .size:           8
        .value_kind:     global_buffer
    .group_segment_fixed_size: 0
    .kernarg_segment_align: 8
    .kernarg_segment_size: 88
    .language:       OpenCL C
    .language_version:
      - 2
      - 0
    .max_flat_workgroup_size: 44
    .name:           fft_rtc_back_len924_factors_2_2_3_7_11_wgs_44_tpt_44_halfLds_dp_ip_CI_unitstride_sbrr_dirReg
    .private_segment_fixed_size: 0
    .sgpr_count:     40
    .sgpr_spill_count: 0
    .symbol:         fft_rtc_back_len924_factors_2_2_3_7_11_wgs_44_tpt_44_halfLds_dp_ip_CI_unitstride_sbrr_dirReg.kd
    .uniform_work_group_size: 1
    .uses_dynamic_stack: false
    .vgpr_count:     203
    .vgpr_spill_count: 0
    .wavefront_size: 64
amdhsa.target:   amdgcn-amd-amdhsa--gfx906
amdhsa.version:
  - 1
  - 2
...

	.end_amdgpu_metadata
